;; amdgpu-corpus repo=ROCm/rocFFT kind=compiled arch=gfx906 opt=O3
	.text
	.amdgcn_target "amdgcn-amd-amdhsa--gfx906"
	.amdhsa_code_object_version 6
	.protected	fft_rtc_back_len1078_factors_2_11_7_7_wgs_231_tpt_77_halfLds_half_op_CI_CI_sbrr_dirReg ; -- Begin function fft_rtc_back_len1078_factors_2_11_7_7_wgs_231_tpt_77_halfLds_half_op_CI_CI_sbrr_dirReg
	.globl	fft_rtc_back_len1078_factors_2_11_7_7_wgs_231_tpt_77_halfLds_half_op_CI_CI_sbrr_dirReg
	.p2align	8
	.type	fft_rtc_back_len1078_factors_2_11_7_7_wgs_231_tpt_77_halfLds_half_op_CI_CI_sbrr_dirReg,@function
fft_rtc_back_len1078_factors_2_11_7_7_wgs_231_tpt_77_halfLds_half_op_CI_CI_sbrr_dirReg: ; @fft_rtc_back_len1078_factors_2_11_7_7_wgs_231_tpt_77_halfLds_half_op_CI_CI_sbrr_dirReg
; %bb.0:
	s_load_dwordx4 s[16:19], s[4:5], 0x18
	s_load_dwordx4 s[12:15], s[4:5], 0x0
	;; [unrolled: 1-line block ×3, first 2 shown]
	v_mul_u32_u24_e32 v1, 0x354, v0
	v_lshrrev_b32_e32 v1, 16, v1
	v_mad_u64_u32 v[5:6], s[0:1], s6, 3, v[1:2]
	s_waitcnt lgkmcnt(0)
	s_load_dwordx2 s[20:21], s[16:17], 0x0
	s_load_dwordx2 s[2:3], s[18:19], 0x0
	v_mov_b32_e32 v9, 0
	v_cmp_lt_u64_e64 s[0:1], s[14:15], 2
	v_mov_b32_e32 v7, 0
	v_mov_b32_e32 v6, v9
	;; [unrolled: 1-line block ×5, first 2 shown]
	s_and_b64 vcc, exec, s[0:1]
	v_mov_b32_e32 v2, v8
	v_mov_b32_e32 v4, v6
	s_cbranch_vccnz .LBB0_8
; %bb.1:
	s_load_dwordx2 s[0:1], s[4:5], 0x10
	s_add_u32 s6, s18, 8
	s_addc_u32 s7, s19, 0
	s_add_u32 s22, s16, 8
	s_addc_u32 s23, s17, 0
	v_mov_b32_e32 v7, 0
	s_waitcnt lgkmcnt(0)
	s_add_u32 s24, s0, 8
	v_mov_b32_e32 v8, 0
	v_mov_b32_e32 v1, v7
	;; [unrolled: 1-line block ×3, first 2 shown]
	s_addc_u32 s25, s1, 0
	s_mov_b64 s[26:27], 1
	v_mov_b32_e32 v2, v8
	v_mov_b32_e32 v11, v5
.LBB0_2:                                ; =>This Inner Loop Header: Depth=1
	s_load_dwordx2 s[28:29], s[24:25], 0x0
                                        ; implicit-def: $vgpr3_vgpr4
	s_waitcnt lgkmcnt(0)
	v_or_b32_e32 v10, s29, v12
	v_cmp_ne_u64_e32 vcc, 0, v[9:10]
	s_and_saveexec_b64 s[0:1], vcc
	s_xor_b64 s[30:31], exec, s[0:1]
	s_cbranch_execz .LBB0_4
; %bb.3:                                ;   in Loop: Header=BB0_2 Depth=1
	v_cvt_f32_u32_e32 v3, s28
	v_cvt_f32_u32_e32 v4, s29
	s_sub_u32 s0, 0, s28
	s_subb_u32 s1, 0, s29
	v_mac_f32_e32 v3, 0x4f800000, v4
	v_rcp_f32_e32 v3, v3
	v_mul_f32_e32 v3, 0x5f7ffffc, v3
	v_mul_f32_e32 v4, 0x2f800000, v3
	v_trunc_f32_e32 v4, v4
	v_mac_f32_e32 v3, 0xcf800000, v4
	v_cvt_u32_f32_e32 v4, v4
	v_cvt_u32_f32_e32 v3, v3
	v_mul_lo_u32 v6, s0, v4
	v_mul_hi_u32 v10, s0, v3
	v_mul_lo_u32 v14, s1, v3
	v_mul_lo_u32 v13, s0, v3
	v_add_u32_e32 v6, v10, v6
	v_add_u32_e32 v6, v6, v14
	v_mul_hi_u32 v10, v3, v13
	v_mul_lo_u32 v14, v3, v6
	v_mul_hi_u32 v16, v3, v6
	v_mul_hi_u32 v15, v4, v13
	v_mul_lo_u32 v13, v4, v13
	v_mul_hi_u32 v17, v4, v6
	v_add_co_u32_e32 v10, vcc, v10, v14
	v_addc_co_u32_e32 v14, vcc, 0, v16, vcc
	v_mul_lo_u32 v6, v4, v6
	v_add_co_u32_e32 v10, vcc, v10, v13
	v_addc_co_u32_e32 v10, vcc, v14, v15, vcc
	v_addc_co_u32_e32 v13, vcc, 0, v17, vcc
	v_add_co_u32_e32 v6, vcc, v10, v6
	v_addc_co_u32_e32 v10, vcc, 0, v13, vcc
	v_add_co_u32_e32 v3, vcc, v3, v6
	v_addc_co_u32_e32 v4, vcc, v4, v10, vcc
	v_mul_lo_u32 v6, s0, v4
	v_mul_hi_u32 v10, s0, v3
	v_mul_lo_u32 v13, s1, v3
	v_mul_lo_u32 v14, s0, v3
	v_add_u32_e32 v6, v10, v6
	v_add_u32_e32 v6, v6, v13
	v_mul_lo_u32 v15, v3, v6
	v_mul_hi_u32 v16, v3, v14
	v_mul_hi_u32 v17, v3, v6
	;; [unrolled: 1-line block ×3, first 2 shown]
	v_mul_lo_u32 v14, v4, v14
	v_mul_hi_u32 v10, v4, v6
	v_add_co_u32_e32 v15, vcc, v16, v15
	v_addc_co_u32_e32 v16, vcc, 0, v17, vcc
	v_mul_lo_u32 v6, v4, v6
	v_add_co_u32_e32 v14, vcc, v15, v14
	v_addc_co_u32_e32 v13, vcc, v16, v13, vcc
	v_addc_co_u32_e32 v10, vcc, 0, v10, vcc
	v_add_co_u32_e32 v6, vcc, v13, v6
	v_addc_co_u32_e32 v10, vcc, 0, v10, vcc
	v_add_co_u32_e32 v6, vcc, v3, v6
	v_addc_co_u32_e32 v10, vcc, v4, v10, vcc
	v_mad_u64_u32 v[3:4], s[0:1], v11, v10, 0
	v_mul_hi_u32 v13, v11, v6
	v_add_co_u32_e32 v15, vcc, v13, v3
	v_addc_co_u32_e32 v16, vcc, 0, v4, vcc
	v_mad_u64_u32 v[3:4], s[0:1], v12, v6, 0
	v_mad_u64_u32 v[13:14], s[0:1], v12, v10, 0
	v_add_co_u32_e32 v3, vcc, v15, v3
	v_addc_co_u32_e32 v3, vcc, v16, v4, vcc
	v_addc_co_u32_e32 v4, vcc, 0, v14, vcc
	v_add_co_u32_e32 v6, vcc, v3, v13
	v_addc_co_u32_e32 v10, vcc, 0, v4, vcc
	v_mul_lo_u32 v13, s29, v6
	v_mul_lo_u32 v14, s28, v10
	v_mad_u64_u32 v[3:4], s[0:1], s28, v6, 0
	v_add3_u32 v4, v4, v14, v13
	v_sub_u32_e32 v13, v12, v4
	v_mov_b32_e32 v14, s29
	v_sub_co_u32_e32 v3, vcc, v11, v3
	v_subb_co_u32_e64 v13, s[0:1], v13, v14, vcc
	v_subrev_co_u32_e64 v14, s[0:1], s28, v3
	v_subbrev_co_u32_e64 v13, s[0:1], 0, v13, s[0:1]
	v_cmp_le_u32_e64 s[0:1], s29, v13
	v_cndmask_b32_e64 v15, 0, -1, s[0:1]
	v_cmp_le_u32_e64 s[0:1], s28, v14
	v_cndmask_b32_e64 v14, 0, -1, s[0:1]
	v_cmp_eq_u32_e64 s[0:1], s29, v13
	v_cndmask_b32_e64 v13, v15, v14, s[0:1]
	v_add_co_u32_e64 v14, s[0:1], 2, v6
	v_addc_co_u32_e64 v15, s[0:1], 0, v10, s[0:1]
	v_add_co_u32_e64 v16, s[0:1], 1, v6
	v_addc_co_u32_e64 v17, s[0:1], 0, v10, s[0:1]
	v_subb_co_u32_e32 v4, vcc, v12, v4, vcc
	v_cmp_ne_u32_e64 s[0:1], 0, v13
	v_cmp_le_u32_e32 vcc, s29, v4
	v_cndmask_b32_e64 v13, v17, v15, s[0:1]
	v_cndmask_b32_e64 v15, 0, -1, vcc
	v_cmp_le_u32_e32 vcc, s28, v3
	v_cndmask_b32_e64 v3, 0, -1, vcc
	v_cmp_eq_u32_e32 vcc, s29, v4
	v_cndmask_b32_e32 v3, v15, v3, vcc
	v_cmp_ne_u32_e32 vcc, 0, v3
	v_cndmask_b32_e64 v3, v16, v14, s[0:1]
	v_cndmask_b32_e32 v4, v10, v13, vcc
	v_cndmask_b32_e32 v3, v6, v3, vcc
.LBB0_4:                                ;   in Loop: Header=BB0_2 Depth=1
	s_andn2_saveexec_b64 s[0:1], s[30:31]
	s_cbranch_execz .LBB0_6
; %bb.5:                                ;   in Loop: Header=BB0_2 Depth=1
	v_cvt_f32_u32_e32 v3, s28
	s_sub_i32 s30, 0, s28
	v_rcp_iflag_f32_e32 v3, v3
	v_mul_f32_e32 v3, 0x4f7ffffe, v3
	v_cvt_u32_f32_e32 v3, v3
	v_mul_lo_u32 v4, s30, v3
	v_mul_hi_u32 v4, v3, v4
	v_add_u32_e32 v3, v3, v4
	v_mul_hi_u32 v3, v11, v3
	v_mul_lo_u32 v4, v3, s28
	v_add_u32_e32 v6, 1, v3
	v_sub_u32_e32 v4, v11, v4
	v_subrev_u32_e32 v10, s28, v4
	v_cmp_le_u32_e32 vcc, s28, v4
	v_cndmask_b32_e32 v4, v4, v10, vcc
	v_cndmask_b32_e32 v3, v3, v6, vcc
	v_add_u32_e32 v6, 1, v3
	v_cmp_le_u32_e32 vcc, s28, v4
	v_cndmask_b32_e32 v3, v3, v6, vcc
	v_mov_b32_e32 v4, v9
.LBB0_6:                                ;   in Loop: Header=BB0_2 Depth=1
	s_or_b64 exec, exec, s[0:1]
	v_mul_lo_u32 v6, v4, s28
	v_mul_lo_u32 v10, v3, s29
	v_mad_u64_u32 v[13:14], s[0:1], v3, s28, 0
	s_load_dwordx2 s[0:1], s[22:23], 0x0
	s_load_dwordx2 s[28:29], s[6:7], 0x0
	v_add3_u32 v6, v14, v10, v6
	v_sub_co_u32_e32 v10, vcc, v11, v13
	v_subb_co_u32_e32 v6, vcc, v12, v6, vcc
	s_waitcnt lgkmcnt(0)
	v_mul_lo_u32 v11, s0, v6
	v_mul_lo_u32 v12, s1, v10
	v_mad_u64_u32 v[7:8], s[0:1], s0, v10, v[7:8]
	s_add_u32 s26, s26, 1
	s_addc_u32 s27, s27, 0
	s_add_u32 s6, s6, 8
	v_mul_lo_u32 v6, s28, v6
	v_mul_lo_u32 v13, s29, v10
	v_mad_u64_u32 v[1:2], s[0:1], s28, v10, v[1:2]
	v_add3_u32 v8, v12, v8, v11
	s_addc_u32 s7, s7, 0
	v_mov_b32_e32 v10, s14
	s_add_u32 s22, s22, 8
	v_mov_b32_e32 v11, s15
	s_addc_u32 s23, s23, 0
	v_cmp_ge_u64_e32 vcc, s[26:27], v[10:11]
	s_add_u32 s24, s24, 8
	v_add3_u32 v2, v13, v2, v6
	s_addc_u32 s25, s25, 0
	s_cbranch_vccnz .LBB0_8
; %bb.7:                                ;   in Loop: Header=BB0_2 Depth=1
	v_mov_b32_e32 v12, v4
	v_mov_b32_e32 v11, v3
	s_branch .LBB0_2
.LBB0_8:
	s_load_dwordx2 s[0:1], s[4:5], 0x28
	s_lshl_b64 s[14:15], s[14:15], 3
	s_add_u32 s4, s18, s14
	s_addc_u32 s5, s19, s15
                                        ; implicit-def: $sgpr18
                                        ; implicit-def: $vgpr6
                                        ; implicit-def: $vgpr9
                                        ; implicit-def: $vgpr10
                                        ; implicit-def: $vgpr11
                                        ; implicit-def: $vgpr12
	s_waitcnt lgkmcnt(0)
	v_cmp_gt_u64_e32 vcc, s[0:1], v[3:4]
	v_cmp_le_u64_e64 s[0:1], s[0:1], v[3:4]
	s_and_saveexec_b64 s[6:7], s[0:1]
	s_xor_b64 s[0:1], exec, s[6:7]
; %bb.9:
	s_mov_b32 s6, 0x3531ded
	v_mul_hi_u32 v6, v0, s6
	s_mov_b32 s18, 0
                                        ; implicit-def: $vgpr7_vgpr8
	v_mul_u32_u24_e32 v6, 0x4d, v6
	v_sub_u32_e32 v6, v0, v6
	v_add_u32_e32 v9, 0x4d, v6
	v_add_u32_e32 v10, 0x9a, v6
	;; [unrolled: 1-line block ×4, first 2 shown]
                                        ; implicit-def: $vgpr0
; %bb.10:
	s_or_saveexec_b64 s[6:7], s[0:1]
	v_mov_b32_e32 v14, s18
	v_mov_b32_e32 v16, s18
	;; [unrolled: 1-line block ×7, first 2 shown]
                                        ; implicit-def: $vgpr24
                                        ; implicit-def: $vgpr15
                                        ; implicit-def: $vgpr27
                                        ; implicit-def: $vgpr13
                                        ; implicit-def: $vgpr29
                                        ; implicit-def: $vgpr19
                                        ; implicit-def: $vgpr31
                                        ; implicit-def: $vgpr20
                                        ; implicit-def: $vgpr34
                                        ; implicit-def: $vgpr21
                                        ; implicit-def: $vgpr36
                                        ; implicit-def: $vgpr25
                                        ; implicit-def: $vgpr37
                                        ; implicit-def: $vgpr26
	s_xor_b64 exec, exec, s[6:7]
	s_cbranch_execz .LBB0_12
; %bb.11:
	s_add_u32 s0, s16, s14
	s_mov_b32 s14, 0x3531ded
	v_mul_hi_u32 v6, v0, s14
	s_addc_u32 s1, s17, s15
	s_load_dwordx2 s[0:1], s[0:1], 0x0
	v_lshlrev_b64 v[7:8], 2, v[7:8]
	v_mul_u32_u24_e32 v6, 0x4d, v6
	v_sub_u32_e32 v6, v0, v6
	v_mad_u64_u32 v[9:10], s[14:15], s20, v6, 0
	s_waitcnt lgkmcnt(0)
	v_mul_lo_u32 v15, s1, v3
	v_mul_lo_u32 v16, s0, v4
	v_mad_u64_u32 v[11:12], s[0:1], s0, v3, 0
	v_mov_b32_e32 v0, v10
	v_mad_u64_u32 v[13:14], s[0:1], s21, v6, v[0:1]
	v_add3_u32 v12, v12, v16, v15
	v_lshlrev_b64 v[11:12], 2, v[11:12]
	v_mov_b32_e32 v10, v13
	v_mov_b32_e32 v0, s9
	v_add_co_u32_e64 v13, s[0:1], s8, v11
	v_add_u32_e32 v14, 0x21b, v6
	v_addc_co_u32_e64 v0, s[0:1], v0, v12, s[0:1]
	v_mad_u64_u32 v[11:12], s[0:1], s20, v14, 0
	v_add_co_u32_e64 v39, s[0:1], v13, v7
	v_addc_co_u32_e64 v40, s[0:1], v0, v8, s[0:1]
	v_mov_b32_e32 v0, v12
	v_lshlrev_b64 v[7:8], 2, v[9:10]
	v_mad_u64_u32 v[12:13], s[0:1], s21, v14, v[0:1]
	v_add_u32_e32 v9, 0x4d, v6
	v_mad_u64_u32 v[13:14], s[0:1], s20, v9, 0
	v_add_co_u32_e64 v7, s[0:1], v39, v7
	v_mov_b32_e32 v0, v14
	v_addc_co_u32_e64 v8, s[0:1], v40, v8, s[0:1]
	v_mad_u64_u32 v[14:15], s[0:1], s21, v9, v[0:1]
	v_add_u32_e32 v17, 0x268, v6
	v_mad_u64_u32 v[15:16], s[0:1], s20, v17, 0
	v_lshlrev_b64 v[10:11], 2, v[11:12]
	v_add_u32_e32 v41, 0x34f, v6
	v_add_co_u32_e64 v21, s[0:1], v39, v10
	v_mov_b32_e32 v0, v16
	v_add_u32_e32 v10, 0x9a, v6
	v_addc_co_u32_e64 v22, s[0:1], v40, v11, s[0:1]
	v_lshlrev_b64 v[11:12], 2, v[13:14]
	v_mad_u64_u32 v[13:14], s[0:1], s21, v17, v[0:1]
	v_mad_u64_u32 v[17:18], s[0:1], s20, v10, 0
	v_add_co_u32_e64 v23, s[0:1], v39, v11
	v_mov_b32_e32 v16, v13
	v_mov_b32_e32 v0, v18
	v_addc_co_u32_e64 v24, s[0:1], v40, v12, s[0:1]
	v_lshlrev_b64 v[11:12], 2, v[15:16]
	v_mad_u64_u32 v[13:14], s[0:1], s21, v10, v[0:1]
	v_add_u32_e32 v16, 0x2b5, v6
	v_mad_u64_u32 v[14:15], s[0:1], s20, v16, 0
	v_add_co_u32_e64 v25, s[0:1], v39, v11
	v_mov_b32_e32 v0, v15
	v_addc_co_u32_e64 v26, s[0:1], v40, v12, s[0:1]
	v_mov_b32_e32 v18, v13
	v_mad_u64_u32 v[15:16], s[0:1], s21, v16, v[0:1]
	v_add_u32_e32 v13, 0xe7, v6
	v_lshlrev_b64 v[11:12], 2, v[17:18]
	v_mad_u64_u32 v[16:17], s[0:1], s20, v13, 0
	v_add_co_u32_e64 v27, s[0:1], v39, v11
	v_mov_b32_e32 v0, v17
	v_addc_co_u32_e64 v28, s[0:1], v40, v12, s[0:1]
	v_lshlrev_b64 v[11:12], 2, v[14:15]
	v_mad_u64_u32 v[13:14], s[0:1], s21, v13, v[0:1]
	v_add_u32_e32 v18, 0x302, v6
	v_mad_u64_u32 v[14:15], s[0:1], s20, v18, 0
	v_add_co_u32_e64 v29, s[0:1], v39, v11
	v_mov_b32_e32 v17, v13
	v_mov_b32_e32 v0, v15
	v_addc_co_u32_e64 v30, s[0:1], v40, v12, s[0:1]
	v_lshlrev_b64 v[11:12], 2, v[16:17]
	v_mad_u64_u32 v[15:16], s[0:1], s21, v18, v[0:1]
	v_add_co_u32_e64 v31, s[0:1], v39, v11
	v_add_u32_e32 v11, 0x134, v6
	v_addc_co_u32_e64 v32, s[0:1], v40, v12, s[0:1]
	v_mad_u64_u32 v[33:34], s[0:1], s20, v11, 0
	v_lshlrev_b64 v[12:13], 2, v[14:15]
	v_add_co_u32_e64 v35, s[0:1], v39, v12
	v_addc_co_u32_e64 v36, s[0:1], v40, v13, s[0:1]
	v_mov_b32_e32 v0, v34
	v_mad_u64_u32 v[37:38], s[0:1], s20, v41, 0
	v_mad_u64_u32 v[12:13], s[0:1], s21, v11, v[0:1]
	v_mov_b32_e32 v0, v38
	global_load_dword v14, v[7:8], off
	global_load_dword v15, v[21:22], off
	;; [unrolled: 1-line block ×8, first 2 shown]
	v_mov_b32_e32 v34, v12
	v_mad_u64_u32 v[21:22], s[0:1], s21, v41, v[0:1]
	v_add_u32_e32 v12, 0x181, v6
	v_mad_u64_u32 v[22:23], s[0:1], s20, v12, 0
	v_lshlrev_b64 v[7:8], 2, v[33:34]
	v_mov_b32_e32 v38, v21
	v_add_co_u32_e64 v7, s[0:1], v39, v7
	v_mov_b32_e32 v0, v23
	v_addc_co_u32_e64 v8, s[0:1], v40, v8, s[0:1]
	v_mad_u64_u32 v[26:27], s[0:1], s21, v12, v[0:1]
	v_add_u32_e32 v12, 0x39c, v6
	v_mad_u64_u32 v[27:28], s[0:1], s20, v12, 0
	v_lshlrev_b64 v[24:25], 2, v[37:38]
	v_mov_b32_e32 v23, v26
	v_add_co_u32_e64 v29, s[0:1], v39, v24
	v_mov_b32_e32 v0, v28
	v_addc_co_u32_e64 v30, s[0:1], v40, v25, s[0:1]
	v_lshlrev_b64 v[21:22], 2, v[22:23]
	v_mad_u64_u32 v[23:24], s[0:1], s21, v12, v[0:1]
	v_add_co_u32_e64 v31, s[0:1], v39, v21
	v_mov_b32_e32 v28, v23
	v_add_u32_e32 v12, 0x1ce, v6
	v_addc_co_u32_e64 v32, s[0:1], v40, v22, s[0:1]
	v_lshlrev_b64 v[21:22], 2, v[27:28]
	v_mad_u64_u32 v[26:27], s[0:1], s20, v12, 0
	v_add_co_u32_e64 v33, s[0:1], v39, v21
	v_mov_b32_e32 v0, v27
	v_add_u32_e32 v28, 0x3e9, v6
	v_addc_co_u32_e64 v34, s[0:1], v40, v22, s[0:1]
	v_mad_u64_u32 v[24:25], s[0:1], s21, v12, v[0:1]
	v_mad_u64_u32 v[35:36], s[0:1], s20, v28, 0
	v_mov_b32_e32 v27, v24
	global_load_dword v22, v[7:8], off
	global_load_dword v21, v[29:30], off
	;; [unrolled: 1-line block ×4, first 2 shown]
	v_mov_b32_e32 v0, v36
	v_lshlrev_b64 v[7:8], 2, v[26:27]
	v_mad_u64_u32 v[26:27], s[0:1], s21, v28, v[0:1]
	v_add_co_u32_e64 v7, s[0:1], v39, v7
	v_mov_b32_e32 v36, v26
	v_lshlrev_b64 v[26:27], 2, v[35:36]
	v_addc_co_u32_e64 v8, s[0:1], v40, v8, s[0:1]
	v_add_co_u32_e64 v28, s[0:1], v39, v26
	v_addc_co_u32_e64 v29, s[0:1], v40, v27, s[0:1]
	global_load_dword v26, v[28:29], off
	global_load_dword v38, v[7:8], off
	s_waitcnt vmcnt(12)
	v_lshrrev_b32_e32 v24, 16, v15
	s_waitcnt vmcnt(10)
	v_lshrrev_b32_e32 v27, 16, v13
	;; [unrolled: 2-line block ×7, first 2 shown]
.LBB0_12:
	s_or_b64 exec, exec, s[6:7]
	s_mov_b32 s0, 0xaaaaaaab
	v_mul_hi_u32 v0, v5, s0
	v_sub_f16_e32 v28, v14, v15
	v_fma_f16 v30, v14, 2.0, -v28
	v_sub_f16_e32 v32, v17, v19
	v_lshrrev_b32_e32 v0, 1, v0
	v_lshl_add_u32 v0, v0, 1, v0
	v_sub_u32_e32 v0, v5, v0
	v_mul_u32_u24_e32 v0, 0x436, v0
	v_sub_f16_e32 v5, v16, v13
	v_lshlrev_b32_e32 v7, 1, v0
	v_fma_f16 v13, v16, 2.0, -v5
	v_add_u32_e32 v0, 0, v7
	v_fma_f16 v33, v17, 2.0, -v32
	v_sub_f16_e32 v35, v18, v20
	v_lshl_add_u32 v8, v6, 2, v0
	v_pack_b32_f16 v28, v30, v28
	v_lshl_add_u32 v46, v9, 2, v0
	v_pack_b32_f16 v5, v13, v5
	v_fma_f16 v39, v18, 2.0, -v35
	v_sub_f16_e32 v21, v22, v21
	ds_write_b32 v8, v28
	ds_write_b32 v46, v5
	v_lshl_add_u32 v48, v10, 2, v0
	v_pack_b32_f16 v5, v33, v32
	v_fma_f16 v40, v22, 2.0, -v21
	v_sub_f16_e32 v15, v23, v25
	ds_write_b32 v48, v5
	v_pack_b32_f16 v5, v39, v35
	v_fma_f16 v25, v23, 2.0, -v15
	s_waitcnt vmcnt(0)
	v_sub_f16_e32 v19, v38, v26
	ds_write_b32 v8, v5 offset:924
	v_lshl_add_u32 v49, v11, 2, v0
	v_pack_b32_f16 v5, v40, v21
	v_fma_f16 v20, v38, 2.0, -v19
	v_lshlrev_b32_e32 v26, 1, v6
	ds_write_b32 v49, v5
	v_pack_b32_f16 v5, v25, v15
	ds_write_b32 v8, v5 offset:1540
	v_lshl_add_u32 v51, v12, 2, v0
	v_pack_b32_f16 v5, v20, v19
	v_add_u32_e32 v0, v0, v26
	s_load_dwordx2 s[4:5], s[4:5], 0x0
	ds_write_b32 v51, v5
	s_waitcnt lgkmcnt(0)
	s_barrier
	v_add3_u32 v5, 0, v26, v7
	ds_read_u16 v53, v0
	ds_read_u16 v47, v5 offset:196
	ds_read_u16 v44, v5 offset:392
	;; [unrolled: 1-line block ×10, first 2 shown]
	v_cmp_gt_u32_e64 s[0:1], 21, v6
	v_lshlrev_b32_e32 v13, 1, v9
                                        ; implicit-def: $vgpr25
                                        ; implicit-def: $vgpr42
                                        ; implicit-def: $vgpr26
                                        ; implicit-def: $vgpr52
                                        ; implicit-def: $vgpr50
                                        ; implicit-def: $vgpr45
                                        ; implicit-def: $vgpr40
                                        ; implicit-def: $vgpr28
	s_and_saveexec_b64 s[6:7], s[0:1]
	s_cbranch_execz .LBB0_14
; %bb.13:
	v_add3_u32 v15, 0, v13, v7
	ds_read_u16 v20, v5 offset:350
	ds_read_u16 v19, v5 offset:546
	ds_read_u16 v25, v5 offset:742
	ds_read_u16 v42, v5 offset:938
	ds_read_u16 v26, v5 offset:1134
	ds_read_u16 v28, v5 offset:1330
	ds_read_u16 v40, v5 offset:1526
	ds_read_u16 v45, v5 offset:1722
	ds_read_u16 v50, v5 offset:1918
	ds_read_u16 v15, v15
	ds_read_u16 v52, v5 offset:2114
.LBB0_14:
	s_or_b64 exec, exec, s[6:7]
	v_lshrrev_b32_e32 v14, 16, v14
	v_sub_f16_e32 v54, v14, v24
	v_fma_f16 v55, v14, 2.0, -v54
	v_lshrrev_b32_e32 v14, 16, v16
	v_sub_f16_e32 v16, v14, v27
	v_fma_f16 v56, v14, 2.0, -v16
	;; [unrolled: 3-line block ×4, first 2 shown]
	v_lshrrev_b32_e32 v14, 16, v22
	v_sub_f16_e32 v22, v14, v34
	v_lshrrev_b32_e32 v23, 16, v23
	v_fma_f16 v34, v14, 2.0, -v22
	v_sub_f16_e32 v14, v23, v36
	v_pack_b32_f16 v36, v55, v54
	v_pack_b32_f16 v16, v56, v16
	s_waitcnt lgkmcnt(0)
	s_barrier
	ds_write_b32 v8, v36
	ds_write_b32 v46, v16
	v_pack_b32_f16 v16, v29, v17
	v_lshrrev_b32_e32 v27, 16, v38
	ds_write_b32 v48, v16
	v_pack_b32_f16 v16, v31, v18
	v_fma_f16 v23, v23, 2.0, -v14
	v_sub_f16_e32 v24, v27, v37
	ds_write_b32 v8, v16 offset:924
	v_pack_b32_f16 v16, v34, v22
	v_fma_f16 v27, v27, 2.0, -v24
	ds_write_b32 v49, v16
	v_pack_b32_f16 v16, v23, v14
	ds_write_b32 v8, v16 offset:1540
	v_pack_b32_f16 v8, v27, v24
	ds_write_b32 v51, v8
	s_waitcnt lgkmcnt(0)
	s_barrier
	ds_read_u16 v16, v0
	ds_read_u16 v23, v5 offset:196
	ds_read_u16 v22, v5 offset:392
	;; [unrolled: 1-line block ×10, first 2 shown]
                                        ; implicit-def: $vgpr57
                                        ; implicit-def: $vgpr55
                                        ; implicit-def: $vgpr60
                                        ; implicit-def: $vgpr59
                                        ; implicit-def: $vgpr51
                                        ; implicit-def: $vgpr46
                                        ; implicit-def: $vgpr49
                                        ; implicit-def: $vgpr61
	s_and_saveexec_b64 s[6:7], s[0:1]
	s_cbranch_execz .LBB0_16
; %bb.15:
	v_add3_u32 v8, 0, v13, v7
	ds_read_u16 v27, v5 offset:350
	ds_read_u16 v24, v5 offset:546
	;; [unrolled: 1-line block ×9, first 2 shown]
	ds_read_u16 v14, v8
	ds_read_u16 v59, v5 offset:2114
.LBB0_16:
	s_or_b64 exec, exec, s[6:7]
	v_and_b32_e32 v54, 1, v6
	v_mul_u32_u24_e32 v8, 10, v54
	v_lshlrev_b32_e32 v73, 2, v8
	global_load_dwordx4 v[63:66], v73, s[12:13]
	global_load_dwordx4 v[67:70], v73, s[12:13] offset:16
	v_and_b32_e32 v8, 1, v9
	v_mul_u32_u24_e32 v29, 10, v8
	v_lshlrev_b32_e32 v75, 2, v29
	s_movk_i32 s21, 0x3abb
	s_movk_i32 s22, 0x36a6
	s_mov_b32 s23, 0xb08e
	s_mov_b32 s24, 0xb93d
	;; [unrolled: 1-line block ×8, first 2 shown]
	s_movk_i32 s18, 0x3482
	s_movk_i32 s17, 0x3beb
	;; [unrolled: 1-line block ×4, first 2 shown]
	s_waitcnt vmcnt(1) lgkmcnt(9)
	v_mul_f16_sdwa v29, v23, v63 dst_sel:DWORD dst_unused:UNUSED_PAD src0_sel:DWORD src1_sel:WORD_1
	v_mul_f16_sdwa v31, v47, v63 dst_sel:DWORD dst_unused:UNUSED_PAD src0_sel:DWORD src1_sel:WORD_1
	s_waitcnt lgkmcnt(8)
	v_mul_f16_sdwa v71, v22, v64 dst_sel:DWORD dst_unused:UNUSED_PAD src0_sel:DWORD src1_sel:WORD_1
	v_mul_f16_sdwa v72, v44, v64 dst_sel:DWORD dst_unused:UNUSED_PAD src0_sel:DWORD src1_sel:WORD_1
	v_fma_f16 v37, v47, v63, v29
	s_waitcnt lgkmcnt(7)
	v_mul_f16_sdwa v47, v17, v65 dst_sel:DWORD dst_unused:UNUSED_PAD src0_sel:DWORD src1_sel:WORD_1
	v_fma_f16 v38, v23, v63, -v31
	v_mul_f16_sdwa v23, v43, v65 dst_sel:DWORD dst_unused:UNUSED_PAD src0_sel:DWORD src1_sel:WORD_1
	v_fma_f16 v29, v44, v64, v71
	s_waitcnt lgkmcnt(6)
	v_mul_f16_sdwa v44, v18, v66 dst_sel:DWORD dst_unused:UNUSED_PAD src0_sel:DWORD src1_sel:WORD_1
	v_mul_f16_sdwa v63, v41, v66 dst_sel:DWORD dst_unused:UNUSED_PAD src0_sel:DWORD src1_sel:WORD_1
	v_fma_f16 v31, v22, v64, -v72
	v_fma_f16 v22, v43, v65, v47
	v_fma_f16 v23, v17, v65, -v23
	v_fma_f16 v17, v41, v66, v44
	v_fma_f16 v18, v18, v66, -v63
	global_load_dwordx2 v[71:72], v73, s[12:13] offset:32
	global_load_dwordx4 v[63:66], v75, s[12:13]
	s_waitcnt vmcnt(2) lgkmcnt(5)
	v_mul_f16_sdwa v41, v34, v67 dst_sel:DWORD dst_unused:UNUSED_PAD src0_sel:DWORD src1_sel:WORD_1
	v_mul_f16_sdwa v43, v33, v67 dst_sel:DWORD dst_unused:UNUSED_PAD src0_sel:DWORD src1_sel:WORD_1
	s_waitcnt lgkmcnt(4)
	v_mul_f16_sdwa v44, v36, v68 dst_sel:DWORD dst_unused:UNUSED_PAD src0_sel:DWORD src1_sel:WORD_1
	v_fma_f16 v33, v33, v67, v41
	v_mul_f16_sdwa v41, v35, v68 dst_sel:DWORD dst_unused:UNUSED_PAD src0_sel:DWORD src1_sel:WORD_1
	v_fma_f16 v34, v34, v67, -v43
	s_waitcnt lgkmcnt(3)
	v_mul_f16_sdwa v43, v62, v69 dst_sel:DWORD dst_unused:UNUSED_PAD src0_sel:DWORD src1_sel:WORD_1
	v_fma_f16 v35, v35, v68, v44
	v_mul_f16_sdwa v44, v32, v69 dst_sel:DWORD dst_unused:UNUSED_PAD src0_sel:DWORD src1_sel:WORD_1
	v_fma_f16 v36, v36, v68, -v41
	;; [unrolled: 5-line block ×3, first 2 shown]
	v_fma_f16 v47, v39, v70, v41
	v_fma_f16 v48, v48, v70, -v32
	global_load_dwordx4 v[67:70], v75, s[12:13] offset:16
	global_load_dwordx2 v[73:74], v75, s[12:13] offset:32
	s_waitcnt vmcnt(0) lgkmcnt(0)
	s_barrier
	v_mul_f16_sdwa v62, v56, v71 dst_sel:DWORD dst_unused:UNUSED_PAD src0_sel:DWORD src1_sel:WORD_1
	v_mul_f16_sdwa v32, v27, v63 dst_sel:DWORD dst_unused:UNUSED_PAD src0_sel:DWORD src1_sel:WORD_1
	v_fma_f16 v39, v20, v63, v32
	v_mul_f16_sdwa v20, v20, v63 dst_sel:DWORD dst_unused:UNUSED_PAD src0_sel:DWORD src1_sel:WORD_1
	v_fma_f16 v41, v27, v63, -v20
	v_mul_f16_sdwa v20, v24, v64 dst_sel:DWORD dst_unused:UNUSED_PAD src0_sel:DWORD src1_sel:WORD_1
	v_fma_f16 v27, v19, v64, v20
	v_mul_f16_sdwa v19, v19, v64 dst_sel:DWORD dst_unused:UNUSED_PAD src0_sel:DWORD src1_sel:WORD_1
	v_fma_f16 v32, v24, v64, -v19
	;; [unrolled: 4-line block ×3, first 2 shown]
	v_mul_f16_sdwa v19, v55, v66 dst_sel:DWORD dst_unused:UNUSED_PAD src0_sel:DWORD src1_sel:WORD_1
	v_fma_f16 v19, v42, v66, v19
	v_mul_f16_sdwa v20, v42, v66 dst_sel:DWORD dst_unused:UNUSED_PAD src0_sel:DWORD src1_sel:WORD_1
	v_mul_f16_sdwa v42, v30, v71 dst_sel:DWORD dst_unused:UNUSED_PAD src0_sel:DWORD src1_sel:WORD_1
	;; [unrolled: 1-line block ×5, first 2 shown]
	v_fma_f16 v20, v55, v66, -v20
	v_fma_f16 v55, v30, v71, v62
	v_mul_f16_sdwa v30, v61, v68 dst_sel:DWORD dst_unused:UNUSED_PAD src0_sel:DWORD src1_sel:WORD_1
	v_fma_f16 v56, v56, v71, -v42
	v_mul_f16_sdwa v42, v28, v68 dst_sel:DWORD dst_unused:UNUSED_PAD src0_sel:DWORD src1_sel:WORD_1
	v_fma_f16 v57, v21, v72, v57
	v_fma_f16 v58, v58, v72, -v63
	v_mul_f16_sdwa v63, v40, v69 dst_sel:DWORD dst_unused:UNUSED_PAD src0_sel:DWORD src1_sel:WORD_1
	v_fma_f16 v21, v26, v67, v64
	v_mul_f16_sdwa v64, v51, v73 dst_sel:DWORD dst_unused:UNUSED_PAD src0_sel:DWORD src1_sel:WORD_1
	v_mul_f16_sdwa v65, v26, v67 dst_sel:DWORD dst_unused:UNUSED_PAD src0_sel:DWORD src1_sel:WORD_1
	;; [unrolled: 1-line block ×4, first 2 shown]
	v_fma_f16 v28, v28, v68, v30
	v_fma_f16 v30, v61, v68, -v42
	v_fma_f16 v42, v49, v69, -v63
	v_fma_f16 v49, v50, v73, v64
	v_mul_f16_sdwa v50, v50, v73 dst_sel:DWORD dst_unused:UNUSED_PAD src0_sel:DWORD src1_sel:WORD_1
	v_sub_f16_e32 v61, v38, v58
	v_mul_f16_sdwa v71, v45, v70 dst_sel:DWORD dst_unused:UNUSED_PAD src0_sel:DWORD src1_sel:WORD_1
	v_fma_f16 v26, v60, v67, -v65
	v_fma_f16 v40, v40, v69, v62
	v_fma_f16 v45, v45, v70, v66
	v_fma_f16 v50, v51, v73, -v50
	v_mul_f16_sdwa v51, v59, v74 dst_sel:DWORD dst_unused:UNUSED_PAD src0_sel:DWORD src1_sel:WORD_1
	v_add_f16_e32 v60, v37, v57
	v_mul_f16_e32 v62, 0xb853, v61
	v_mul_f16_e32 v64, 0xbb47, v61
	;; [unrolled: 1-line block ×5, first 2 shown]
	v_fma_f16 v46, v46, v70, -v71
	v_fma_f16 v51, v52, v74, v51
	v_mul_f16_sdwa v52, v52, v74 dst_sel:DWORD dst_unused:UNUSED_PAD src0_sel:DWORD src1_sel:WORD_1
	v_fma_f16 v63, v60, s21, v62
	v_fma_f16 v62, v60, s21, -v62
	v_fma_f16 v65, v60, s22, v64
	v_fma_f16 v64, v60, s22, -v64
	;; [unrolled: 2-line block ×5, first 2 shown]
	v_sub_f16_e32 v61, v31, v56
	v_fma_f16 v52, v59, v74, -v52
	v_add_f16_e32 v59, v53, v37
	v_add_f16_e32 v63, v53, v63
	;; [unrolled: 1-line block ×12, first 2 shown]
	v_mul_f16_e32 v71, 0xbb47, v61
	v_fma_f16 v72, v60, s22, v71
	v_fma_f16 v71, v60, s22, -v71
	v_add_f16_e32 v62, v71, v62
	v_mul_f16_e32 v71, 0xba0c, v61
	v_add_f16_e32 v63, v72, v63
	v_fma_f16 v72, v60, s24, v71
	v_fma_f16 v71, v60, s24, -v71
	v_add_f16_e32 v64, v71, v64
	v_mul_f16_e32 v71, 0x3482, v61
	v_add_f16_e32 v65, v72, v65
	v_fma_f16 v72, v60, s25, v71
	v_fma_f16 v71, v60, s25, -v71
	v_add_f16_e32 v66, v71, v66
	v_mul_f16_e32 v71, 0x3beb, v61
	v_add_f16_e32 v67, v72, v67
	v_fma_f16 v72, v60, s23, v71
	v_fma_f16 v71, v60, s23, -v71
	v_mul_f16_e32 v61, 0x3853, v61
	v_add_f16_e32 v68, v71, v68
	v_fma_f16 v71, v60, s21, v61
	v_fma_f16 v60, v60, s21, -v61
	v_sub_f16_e32 v61, v23, v48
	v_add_f16_e32 v70, v71, v70
	v_add_f16_e32 v53, v60, v53
	v_add_f16_e32 v60, v22, v47
	v_mul_f16_e32 v71, 0xbbeb, v61
	v_add_f16_e32 v69, v72, v69
	v_fma_f16 v72, v60, s23, v71
	v_fma_f16 v71, v60, s23, -v71
	v_add_f16_e32 v62, v71, v62
	v_mul_f16_e32 v71, 0x3482, v61
	v_add_f16_e32 v63, v72, v63
	v_fma_f16 v72, v60, s25, v71
	v_fma_f16 v71, v60, s25, -v71
	v_add_f16_e32 v64, v71, v64
	v_mul_f16_e32 v71, 0x3b47, v61
	v_add_f16_e32 v65, v72, v65
	v_fma_f16 v72, v60, s22, v71
	v_fma_f16 v71, v60, s22, -v71
	v_add_f16_e32 v66, v71, v66
	v_mul_f16_e32 v71, 0xb853, v61
	v_add_f16_e32 v67, v72, v67
	v_fma_f16 v72, v60, s21, v71
	v_fma_f16 v71, v60, s21, -v71
	v_mul_f16_e32 v61, 0xba0c, v61
	v_add_f16_e32 v68, v71, v68
	v_fma_f16 v71, v60, s24, v61
	v_fma_f16 v60, v60, s24, -v61
	v_sub_f16_e32 v61, v18, v44
	v_add_f16_e32 v70, v71, v70
	v_add_f16_e32 v53, v60, v53
	v_add_f16_e32 v60, v17, v43
	v_mul_f16_e32 v71, 0xba0c, v61
	v_add_f16_e32 v69, v72, v69
	;; [unrolled: 27-line block ×3, first 2 shown]
	v_fma_f16 v72, v60, s25, v71
	v_fma_f16 v71, v60, s25, -v71
	v_add_f16_e32 v62, v71, v62
	v_mul_f16_e32 v71, 0x3853, v61
	v_add_f16_e32 v63, v72, v63
	v_fma_f16 v72, v60, s21, v71
	v_fma_f16 v71, v60, s21, -v71
	v_add_f16_e32 v64, v71, v64
	v_mul_f16_e32 v71, 0xba0c, v61
	v_add_f16_e32 v59, v59, v29
	v_add_f16_e32 v65, v72, v65
	v_fma_f16 v72, v60, s24, v71
	v_fma_f16 v71, v60, s24, -v71
	v_add_f16_e32 v59, v59, v22
	v_add_f16_e32 v66, v71, v66
	v_mul_f16_e32 v71, 0x3b47, v61
	v_add_f16_e32 v59, v59, v17
	v_add_f16_e32 v67, v72, v67
	v_fma_f16 v72, v60, s22, v71
	v_fma_f16 v71, v60, s22, -v71
	v_mul_f16_e32 v61, 0xbbeb, v61
	v_add_f16_e32 v59, v59, v33
	v_add_f16_e32 v68, v71, v68
	v_fma_f16 v71, v60, s23, v61
	v_fma_f16 v60, v60, s23, -v61
	v_add_f16_e32 v59, v59, v35
	v_add_f16_e32 v53, v60, v53
	v_lshrrev_b32_e32 v60, 1, v6
	v_add_f16_e32 v59, v59, v43
	v_mul_u32_u24_e32 v60, 22, v60
	v_add_f16_e32 v59, v59, v47
	v_or_b32_e32 v54, v60, v54
	v_add_f16_e32 v59, v59, v55
	v_lshlrev_b32_e32 v54, 1, v54
	v_add_f16_e32 v59, v59, v57
	v_add3_u32 v54, 0, v54, v7
	v_add_f16_e32 v69, v72, v69
	v_add_f16_e32 v70, v71, v70
	ds_write_b16 v54, v59
	ds_write_b16 v54, v63 offset:4
	ds_write_b16 v54, v65 offset:8
	;; [unrolled: 1-line block ×10, first 2 shown]
	v_lshrrev_b32_e32 v53, 1, v9
	s_and_saveexec_b64 s[6:7], s[0:1]
	s_cbranch_execz .LBB0_18
; %bb.17:
	v_sub_f16_e32 v61, v41, v52
	v_add_f16_e32 v60, v39, v51
	v_mul_f16_e32 v62, 0xb482, v61
	v_sub_f16_e32 v65, v32, v50
	v_fma_f16 v63, v60, s25, -v62
	v_add_f16_e32 v64, v27, v49
	v_mul_f16_e32 v66, 0x3853, v65
	v_add_f16_e32 v63, v15, v63
	v_fma_f16 v67, v64, s21, -v66
	v_sub_f16_e32 v68, v25, v46
	v_add_f16_e32 v63, v67, v63
	v_add_f16_e32 v67, v24, v45
	v_mul_f16_e32 v69, 0xba0c, v68
	v_fma_f16 v70, v67, s24, -v69
	v_sub_f16_e32 v71, v20, v42
	v_fma_f16 v62, v60, s25, v62
	v_add_f16_e32 v63, v70, v63
	v_add_f16_e32 v70, v19, v40
	v_mul_f16_e32 v72, 0x3b47, v71
	v_add_f16_e32 v62, v15, v62
	v_fma_f16 v66, v64, s21, v66
	v_fma_f16 v73, v70, s22, -v72
	v_sub_f16_e32 v74, v26, v30
	v_add_f16_e32 v62, v66, v62
	v_fma_f16 v66, v67, s24, v69
	v_add_f16_e32 v63, v73, v63
	v_add_f16_e32 v73, v21, v28
	v_mul_f16_e32 v75, 0xbbeb, v74
	v_add_f16_e32 v62, v66, v62
	v_fma_f16 v66, v70, s22, v72
	v_add_f16_e32 v62, v66, v62
	v_fma_f16 v66, v73, s23, v75
	v_add_f16_e32 v62, v66, v62
	v_mul_f16_e32 v66, 0xba0c, v61
	v_fma_f16 v69, v60, s24, -v66
	v_mul_f16_e32 v72, 0x3beb, v65
	v_fma_f16 v76, v73, s23, -v75
	v_add_f16_e32 v69, v15, v69
	v_fma_f16 v75, v64, s23, -v72
	v_add_f16_e32 v69, v75, v69
	v_mul_f16_e32 v75, 0xb853, v68
	v_add_f16_e32 v63, v76, v63
	v_fma_f16 v76, v67, s21, -v75
	v_fma_f16 v66, v60, s24, v66
	v_add_f16_e32 v69, v76, v69
	v_mul_f16_e32 v76, 0xb482, v71
	v_add_f16_e32 v66, v15, v66
	v_fma_f16 v72, v64, s23, v72
	v_fma_f16 v77, v70, s25, -v76
	v_add_f16_e32 v66, v72, v66
	v_fma_f16 v72, v67, s21, v75
	v_add_f16_e32 v69, v77, v69
	v_mul_f16_e32 v77, 0x3b47, v74
	v_add_f16_e32 v66, v72, v66
	v_fma_f16 v72, v70, s25, v76
	v_add_f16_e32 v66, v72, v66
	v_fma_f16 v72, v73, s22, v77
	v_add_f16_e32 v66, v72, v66
	v_mul_f16_e32 v72, 0xbbeb, v61
	v_fma_f16 v75, v60, s23, -v72
	v_mul_f16_e32 v76, 0x3482, v65
	v_fma_f16 v78, v73, s22, -v77
	v_add_f16_e32 v75, v15, v75
	v_fma_f16 v77, v64, s25, -v76
	v_add_f16_e32 v75, v77, v75
	v_mul_f16_e32 v77, 0x3b47, v68
	v_add_f16_e32 v69, v78, v69
	v_fma_f16 v78, v67, s22, -v77
	v_fma_f16 v72, v60, s23, v72
	v_add_f16_e32 v75, v78, v75
	v_mul_f16_e32 v78, 0xb853, v71
	v_add_f16_e32 v72, v15, v72
	v_fma_f16 v76, v64, s25, v76
	v_fma_f16 v79, v70, s21, -v78
	v_add_f16_e32 v72, v76, v72
	v_fma_f16 v76, v67, s22, v77
	v_add_f16_e32 v75, v79, v75
	v_mul_f16_e32 v79, 0xba0c, v74
	v_add_f16_e32 v72, v76, v72
	v_fma_f16 v76, v70, s21, v78
	v_add_f16_e32 v72, v76, v72
	v_fma_f16 v76, v73, s24, v79
	v_add_f16_e32 v72, v76, v72
	v_mul_f16_e32 v76, 0xbb47, v61
	v_fma_f16 v77, v60, s22, -v76
	v_mul_f16_e32 v78, 0xba0c, v65
	v_fma_f16 v80, v73, s24, -v79
	v_add_f16_e32 v77, v15, v77
	v_fma_f16 v79, v64, s24, -v78
	v_add_f16_e32 v77, v79, v77
	v_mul_f16_e32 v79, 0x3482, v68
	v_add_f16_e32 v75, v80, v75
	v_fma_f16 v80, v67, s25, -v79
	v_fma_f16 v76, v60, s22, v76
	v_add_f16_e32 v77, v80, v77
	v_mul_f16_e32 v80, 0x3beb, v71
	v_add_f16_e32 v76, v15, v76
	v_fma_f16 v78, v64, s24, v78
	v_fma_f16 v81, v70, s23, -v80
	v_add_f16_e32 v76, v78, v76
	v_fma_f16 v78, v67, s25, v79
	v_add_f16_e32 v59, v15, v39
	v_add_f16_e32 v77, v81, v77
	v_mul_f16_e32 v81, 0x3853, v74
	v_add_f16_e32 v76, v78, v76
	v_fma_f16 v78, v70, s23, v80
	v_add_f16_e32 v59, v59, v27
	v_add_f16_e32 v76, v78, v76
	v_fma_f16 v78, v73, s21, v81
	v_mul_f16_e32 v61, 0xb853, v61
	v_add_f16_e32 v59, v59, v24
	v_add_f16_e32 v76, v78, v76
	v_fma_f16 v78, v60, s21, -v61
	v_mul_f16_e32 v65, 0xbb47, v65
	v_fma_f16 v60, v60, s21, v61
	v_add_f16_e32 v59, v59, v19
	v_add_f16_e32 v78, v15, v78
	v_mul_f16_e32 v68, 0xbbeb, v68
	v_add_f16_e32 v15, v15, v60
	v_fma_f16 v60, v64, s22, v65
	v_mul_lo_u32 v61, v53, 22
	v_add_f16_e32 v59, v59, v21
	v_mul_f16_e32 v71, 0xba0c, v71
	v_add_f16_e32 v15, v60, v15
	v_fma_f16 v60, v67, s23, v68
	v_add_f16_e32 v59, v59, v28
	v_mul_f16_e32 v74, 0xb482, v74
	v_add_f16_e32 v15, v60, v15
	v_fma_f16 v60, v70, s24, v71
	v_add_f16_e32 v59, v59, v40
	v_fma_f16 v79, v64, s22, -v65
	v_add_f16_e32 v15, v60, v15
	v_fma_f16 v60, v73, s25, v74
	v_add_f16_e32 v59, v59, v45
	v_add_f16_e32 v78, v79, v78
	v_fma_f16 v79, v67, s23, -v68
	v_add_f16_e32 v15, v60, v15
	v_or_b32_e32 v60, v61, v8
	v_add_f16_e32 v59, v59, v49
	v_add_f16_e32 v78, v79, v78
	v_fma_f16 v79, v70, s24, -v71
	v_lshlrev_b32_e32 v60, 1, v60
	v_add_f16_e32 v59, v59, v51
	v_fma_f16 v82, v73, s21, -v81
	v_add_f16_e32 v78, v79, v78
	v_fma_f16 v79, v73, s25, -v74
	v_add3_u32 v60, 0, v60, v7
	v_add_f16_e32 v77, v82, v77
	v_add_f16_e32 v78, v79, v78
	ds_write_b16 v60, v59
	ds_write_b16 v60, v15 offset:4
	ds_write_b16 v60, v76 offset:8
	;; [unrolled: 1-line block ×10, first 2 shown]
.LBB0_18:
	s_or_b64 exec, exec, s[6:7]
	v_add_f16_e32 v15, v16, v38
	v_add_f16_e32 v15, v15, v31
	;; [unrolled: 1-line block ×11, first 2 shown]
	v_sub_f16_e32 v37, v37, v57
	v_mul_f16_e32 v38, 0x3abb, v15
	v_mul_f16_e32 v58, 0x36a6, v15
	;; [unrolled: 1-line block ×4, first 2 shown]
	s_movk_i32 s21, 0x3a0c
	v_mul_f16_e32 v15, 0xbbad, v15
	v_fma_f16 v57, v37, s19, v38
	v_fma_f16 v38, v37, s9, v38
	;; [unrolled: 1-line block ×10, first 2 shown]
	v_add_f16_e32 v57, v16, v57
	v_add_f16_e32 v38, v16, v38
	;; [unrolled: 1-line block ×11, first 2 shown]
	v_sub_f16_e32 v29, v29, v55
	v_mul_f16_e32 v31, 0x36a6, v16
	v_fma_f16 v37, v29, s20, v31
	v_fma_f16 v31, v29, s8, v31
	v_add_f16_e32 v31, v31, v38
	v_mul_f16_e32 v38, 0xb93d, v16
	v_fma_f16 v55, v29, s21, v38
	v_fma_f16 v38, v29, s15, v38
	v_mul_f16_e32 v56, 0xbbad, v16
	v_add_f16_e32 v37, v37, v57
	v_add_f16_e32 v38, v38, v58
	v_fma_f16 v57, v29, s16, v56
	v_fma_f16 v56, v29, s18, v56
	v_mul_f16_e32 v58, 0xb08e, v16
	v_mul_f16_e32 v16, 0x3abb, v16
	v_add_f16_e32 v56, v56, v61
	v_fma_f16 v61, v29, s9, v16
	v_fma_f16 v16, v29, s19, v16
	v_add_f16_e32 v15, v16, v15
	v_add_f16_e32 v16, v23, v48
	v_sub_f16_e32 v22, v22, v47
	v_mul_f16_e32 v23, 0xb08e, v16
	v_add_f16_e32 v55, v55, v60
	v_fma_f16 v60, v29, s14, v58
	v_fma_f16 v58, v29, s17, v58
	;; [unrolled: 1-line block ×4, first 2 shown]
	v_add_f16_e32 v23, v23, v31
	v_mul_f16_e32 v31, 0xbbad, v16
	v_add_f16_e32 v29, v29, v37
	v_fma_f16 v37, v22, s16, v31
	v_fma_f16 v31, v22, s18, v31
	v_add_f16_e32 v31, v31, v38
	v_mul_f16_e32 v38, 0x36a6, v16
	v_fma_f16 v47, v22, s8, v38
	v_fma_f16 v38, v22, s20, v38
	v_mul_f16_e32 v48, 0x3abb, v16
	v_mul_f16_e32 v16, 0xb93d, v16
	v_add_f16_e32 v38, v38, v56
	v_fma_f16 v56, v22, s21, v16
	v_fma_f16 v16, v22, s15, v16
	v_add_f16_e32 v15, v16, v15
	v_add_f16_e32 v16, v18, v44
	v_sub_f16_e32 v17, v17, v43
	v_mul_f16_e32 v18, 0xb93d, v16
	v_add_f16_e32 v37, v37, v55
	v_fma_f16 v55, v22, s19, v48
	v_fma_f16 v48, v22, s9, v48
	;; [unrolled: 1-line block ×4, first 2 shown]
	v_add_f16_e32 v18, v18, v23
	v_mul_f16_e32 v23, 0xb08e, v16
	v_add_f16_e32 v22, v22, v29
	v_fma_f16 v29, v17, s14, v23
	v_fma_f16 v23, v17, s17, v23
	v_add_f16_e32 v23, v23, v31
	v_mul_f16_e32 v31, 0x3abb, v16
	v_add_f16_e32 v29, v29, v37
	v_fma_f16 v37, v17, s19, v31
	v_fma_f16 v31, v17, s9, v31
	v_add_f16_e32 v31, v31, v38
	v_mul_f16_e32 v38, 0xbbad, v16
	v_mul_f16_e32 v16, 0x36a6, v16
	v_fma_f16 v44, v17, s8, v16
	v_fma_f16 v16, v17, s20, v16
	v_add_f16_e32 v15, v16, v15
	v_add_f16_e32 v16, v34, v36
	;; [unrolled: 1-line block ×3, first 2 shown]
	v_fma_f16 v43, v17, s18, v38
	v_fma_f16 v38, v17, s16, v38
	v_sub_f16_e32 v17, v33, v35
	v_mul_f16_e32 v33, 0xbbad, v16
	v_add_f16_e32 v58, v58, v63
	v_add_f16_e32 v47, v47, v57
	v_fma_f16 v34, v17, s18, v33
	v_add_f16_e32 v48, v48, v58
	v_add_f16_e32 v37, v37, v47
	;; [unrolled: 1-line block ×3, first 2 shown]
	v_fma_f16 v22, v17, s16, v33
	v_add_f16_e32 v61, v61, v65
	v_add_f16_e32 v38, v38, v48
	;; [unrolled: 1-line block ×3, first 2 shown]
	v_mul_f16_e32 v18, 0x3abb, v16
	v_add_f16_e32 v60, v60, v64
	v_add_f16_e32 v56, v56, v61
	v_fma_f16 v22, v17, s9, v18
	v_fma_f16 v18, v17, s19, v18
	v_add_f16_e32 v55, v55, v60
	v_add_f16_e32 v44, v44, v56
	;; [unrolled: 1-line block ×3, first 2 shown]
	v_mul_f16_e32 v18, 0xb93d, v16
	v_add_f16_e32 v43, v43, v55
	v_add_f16_e32 v55, v22, v29
	v_fma_f16 v22, v17, s21, v18
	v_fma_f16 v18, v17, s15, v18
	v_add_f16_e32 v58, v18, v31
	v_mul_f16_e32 v18, 0x36a6, v16
	v_add_f16_e32 v57, v22, v37
	v_fma_f16 v22, v17, s8, v18
	v_fma_f16 v18, v17, s20, v18
	v_mul_f16_e32 v16, 0xb08e, v16
	v_add_f16_e32 v60, v18, v38
	v_fma_f16 v18, v17, s17, v16
	v_fma_f16 v16, v17, s14, v16
	v_lshlrev_b32_e32 v10, 1, v10
	v_add_f16_e32 v61, v16, v15
	v_add3_u32 v15, 0, v10, v7
	v_lshlrev_b32_e32 v10, 1, v11
	v_add3_u32 v10, 0, v10, v7
	v_lshlrev_b32_e32 v11, 1, v12
	v_add_f16_e32 v43, v22, v43
	v_add_f16_e32 v44, v18, v44
	s_waitcnt lgkmcnt(0)
	s_barrier
	v_add3_u32 v11, 0, v11, v7
	ds_read_u16 v17, v5 offset:1848
	v_add3_u32 v12, 0, v13, v7
	ds_read_u16 v35, v10
	ds_read_u16 v34, v11
	;; [unrolled: 1-line block ×4, first 2 shown]
	ds_read_u16 v23, v5 offset:462
	ds_read_u16 v22, v5 offset:770
	;; [unrolled: 1-line block ×7, first 2 shown]
	ds_read_u16 v38, v15
	ds_read_u16 v31, v5 offset:2002
	s_waitcnt lgkmcnt(0)
	s_barrier
	ds_write_b16 v54, v59
	ds_write_b16 v54, v47 offset:4
	ds_write_b16 v54, v55 offset:8
	;; [unrolled: 1-line block ×10, first 2 shown]
	s_and_saveexec_b64 s[6:7], s[0:1]
	s_cbranch_execz .LBB0_20
; %bb.19:
	v_add_f16_e32 v43, v14, v41
	v_add_f16_e32 v43, v43, v32
	v_add_f16_e32 v43, v43, v25
	v_add_f16_e32 v43, v43, v20
	v_add_f16_e32 v43, v43, v26
	v_add_f16_e32 v43, v43, v30
	v_add_f16_e32 v43, v43, v42
	v_add_f16_e32 v43, v43, v46
	v_add_f16_e32 v43, v43, v50
	v_add_f16_e32 v41, v41, v52
	v_add_f16_e32 v43, v43, v52
	v_sub_f16_e32 v39, v39, v51
	v_mul_f16_e32 v44, 0x3abb, v41
	s_movk_i32 s0, 0x3853
	s_mov_b32 s1, 0xb853
	v_mul_f16_e32 v48, 0x36a6, v41
	s_movk_i32 s8, 0x3b47
	s_mov_b32 s9, 0xbb47
	;; [unrolled: 3-line block ×3, first 2 shown]
	v_mul_f16_e32 v55, 0xb93d, v41
	s_mov_b32 s16, 0xba0c
	v_mul_f16_e32 v41, 0xbbad, v41
	s_movk_i32 s17, 0x3482
	s_mov_b32 s18, 0xb482
	v_fma_f16 v47, v39, s0, v44
	v_fma_f16 v44, v39, s1, v44
	;; [unrolled: 1-line block ×10, first 2 shown]
	v_add_f16_e32 v32, v32, v50
	v_add_f16_e32 v47, v14, v47
	;; [unrolled: 1-line block ×11, first 2 shown]
	v_sub_f16_e32 v27, v27, v49
	v_mul_f16_e32 v39, 0x36a6, v32
	v_fma_f16 v41, v27, s8, v39
	v_fma_f16 v39, v27, s9, v39
	v_add_f16_e32 v39, v39, v44
	v_mul_f16_e32 v44, 0xb93d, v32
	v_add_f16_e32 v41, v41, v47
	v_fma_f16 v47, v27, s21, v44
	v_fma_f16 v44, v27, s16, v44
	v_add_f16_e32 v44, v44, v48
	v_mul_f16_e32 v48, 0xbbad, v32
	v_fma_f16 v49, v27, s18, v48
	v_fma_f16 v48, v27, s17, v48
	v_mul_f16_e32 v50, 0xb08e, v32
	v_mul_f16_e32 v32, 0x3abb, v32
	v_add_f16_e32 v47, v47, v51
	v_add_f16_e32 v48, v48, v52
	v_fma_f16 v51, v27, s15, v50
	v_fma_f16 v50, v27, s14, v50
	;; [unrolled: 1-line block ×4, first 2 shown]
	v_add_f16_e32 v25, v25, v46
	v_add_f16_e32 v14, v27, v14
	v_sub_f16_e32 v24, v24, v45
	v_mul_f16_e32 v27, 0xb08e, v25
	v_fma_f16 v32, v24, s14, v27
	v_fma_f16 v27, v24, s15, v27
	v_add_f16_e32 v27, v27, v39
	v_mul_f16_e32 v39, 0xbbad, v25
	v_add_f16_e32 v32, v32, v41
	v_fma_f16 v41, v24, s18, v39
	v_fma_f16 v39, v24, s17, v39
	v_add_f16_e32 v39, v39, v44
	v_mul_f16_e32 v44, 0x36a6, v25
	v_fma_f16 v45, v24, s9, v44
	v_fma_f16 v44, v24, s8, v44
	v_mul_f16_e32 v46, 0x3abb, v25
	v_mul_f16_e32 v25, 0xb93d, v25
	v_add_f16_e32 v41, v41, v47
	v_add_f16_e32 v44, v44, v48
	v_fma_f16 v47, v24, s0, v46
	v_fma_f16 v46, v24, s1, v46
	;; [unrolled: 1-line block ×4, first 2 shown]
	v_add_f16_e32 v20, v20, v42
	v_add_f16_e32 v14, v24, v14
	v_sub_f16_e32 v19, v19, v40
	v_mul_f16_e32 v24, 0xb93d, v20
	v_fma_f16 v25, v19, s21, v24
	v_fma_f16 v24, v19, s16, v24
	v_add_f16_e32 v24, v24, v27
	v_mul_f16_e32 v27, 0xb08e, v20
	v_add_f16_e32 v25, v25, v32
	v_fma_f16 v32, v19, s15, v27
	v_fma_f16 v27, v19, s14, v27
	v_add_f16_e32 v27, v27, v39
	v_mul_f16_e32 v39, 0x3abb, v20
	v_add_f16_e32 v32, v32, v41
	v_fma_f16 v40, v19, s0, v39
	v_fma_f16 v39, v19, s1, v39
	v_mul_f16_e32 v41, 0xbbad, v20
	v_mul_f16_e32 v20, 0x36a6, v20
	v_add_f16_e32 v39, v39, v44
	v_fma_f16 v42, v19, s17, v41
	v_fma_f16 v41, v19, s18, v41
	;; [unrolled: 1-line block ×4, first 2 shown]
	v_add_f16_e32 v14, v19, v14
	v_add_f16_e32 v19, v26, v30
	v_sub_f16_e32 v20, v21, v28
	v_mul_f16_e32 v21, 0xbbad, v19
	v_fma_f16 v26, v20, s17, v21
	v_fma_f16 v21, v20, s18, v21
	v_add_f16_e32 v21, v21, v24
	v_mul_f16_e32 v24, 0x3abb, v19
	v_add_f16_e32 v49, v49, v54
	v_add_f16_e32 v25, v26, v25
	v_fma_f16 v26, v20, s1, v24
	v_fma_f16 v24, v20, s0, v24
	v_add_f16_e32 v45, v45, v49
	v_add_f16_e32 v24, v24, v27
	v_mul_f16_e32 v27, 0xb93d, v19
	v_add_f16_e32 v40, v40, v45
	v_fma_f16 v28, v20, s21, v27
	v_add_f16_e32 v28, v28, v40
	v_mul_lo_u32 v40, v53, 22
	v_add_f16_e32 v51, v51, v56
	v_add_f16_e32 v50, v50, v55
	;; [unrolled: 1-line block ×3, first 2 shown]
	v_or_b32_e32 v8, v40, v8
	v_add_f16_e32 v47, v47, v51
	v_add_f16_e32 v46, v46, v50
	v_add_f16_e32 v48, v48, v52
	v_fma_f16 v27, v20, s16, v27
	v_mul_f16_e32 v30, 0x36a6, v19
	v_mul_f16_e32 v19, 0xb08e, v19
	v_lshlrev_b32_e32 v8, 1, v8
	v_add_f16_e32 v42, v42, v47
	v_add_f16_e32 v41, v41, v46
	;; [unrolled: 1-line block ×5, first 2 shown]
	v_fma_f16 v32, v20, s9, v30
	v_fma_f16 v30, v20, s8, v30
	;; [unrolled: 1-line block ×4, first 2 shown]
	v_add3_u32 v8, 0, v8, v7
	v_add_f16_e32 v32, v32, v42
	v_add_f16_e32 v30, v30, v41
	;; [unrolled: 1-line block ×4, first 2 shown]
	ds_write_b16 v8, v43
	ds_write_b16 v8, v25 offset:4
	ds_write_b16 v8, v26 offset:8
	;; [unrolled: 1-line block ×10, first 2 shown]
.LBB0_20:
	s_or_b64 exec, exec, s[6:7]
	v_lshrrev_b16_e32 v8, 1, v6
	v_and_b32_e32 v8, 0x7f, v8
	v_mul_lo_u16_e32 v8, 0xbb, v8
	v_lshrrev_b16_e32 v8, 11, v8
	v_mul_lo_u16_e32 v14, 22, v8
	v_sub_u16_e32 v14, v6, v14
	v_mov_b32_e32 v21, 6
	v_mul_u32_u24_sdwa v19, v14, v21 dst_sel:DWORD dst_unused:UNUSED_PAD src0_sel:BYTE_0 src1_sel:DWORD
	v_lshlrev_b32_e32 v28, 2, v19
	s_waitcnt lgkmcnt(0)
	s_barrier
	global_load_dwordx4 v[24:27], v28, s[12:13] offset:80
	global_load_dwordx2 v[19:20], v28, s[12:13] offset:96
	v_lshrrev_b16_e32 v28, 1, v9
	v_and_b32_e32 v28, 0x7f, v28
	v_mul_lo_u16_e32 v28, 0xbb, v28
	v_lshrrev_b16_e32 v28, 11, v28
	v_mul_lo_u16_e32 v30, 22, v28
	v_sub_u16_e32 v30, v9, v30
	v_mul_u32_u24_sdwa v21, v30, v21 dst_sel:DWORD dst_unused:UNUSED_PAD src0_sel:BYTE_0 src1_sel:DWORD
	v_lshlrev_b32_e32 v21, 2, v21
	global_load_dwordx4 v[39:42], v21, s[12:13] offset:80
	global_load_dwordx2 v[43:44], v21, s[12:13] offset:96
	ds_read_u16 v21, v5 offset:1848
	ds_read_u16 v32, v15
	ds_read_u16 v45, v10
	;; [unrolled: 1-line block ×5, first 2 shown]
	ds_read_u16 v49, v5 offset:462
	ds_read_u16 v50, v5 offset:770
	;; [unrolled: 1-line block ×8, first 2 shown]
	s_movk_i32 s16, 0x2b26
	s_mov_b32 s0, 0xbb00
	s_mov_b32 s14, 0xbcab
	s_movk_i32 s1, 0x39e0
	s_mov_b32 s7, 0xb9e0
	s_mov_b32 s15, 0xb574
	s_movk_i32 s8, 0x3574
	s_mov_b32 s6, 0xb70e
	s_waitcnt vmcnt(0) lgkmcnt(0)
	s_barrier
	s_movk_i32 s9, 0x3a52
	v_mul_f16_sdwa v57, v32, v24 dst_sel:DWORD dst_unused:UNUSED_PAD src0_sel:DWORD src1_sel:WORD_1
	v_mul_f16_sdwa v58, v38, v24 dst_sel:DWORD dst_unused:UNUSED_PAD src0_sel:DWORD src1_sel:WORD_1
	v_mul_f16_sdwa v59, v45, v25 dst_sel:DWORD dst_unused:UNUSED_PAD src0_sel:DWORD src1_sel:WORD_1
	v_mul_f16_sdwa v60, v35, v25 dst_sel:DWORD dst_unused:UNUSED_PAD src0_sel:DWORD src1_sel:WORD_1
	v_mul_f16_sdwa v65, v52, v19 dst_sel:DWORD dst_unused:UNUSED_PAD src0_sel:DWORD src1_sel:WORD_1
	v_mul_f16_sdwa v66, v36, v19 dst_sel:DWORD dst_unused:UNUSED_PAD src0_sel:DWORD src1_sel:WORD_1
	v_mul_f16_sdwa v67, v21, v20 dst_sel:DWORD dst_unused:UNUSED_PAD src0_sel:DWORD src1_sel:WORD_1
	v_mul_f16_sdwa v68, v17, v20 dst_sel:DWORD dst_unused:UNUSED_PAD src0_sel:DWORD src1_sel:WORD_1
	v_mul_f16_sdwa v61, v46, v26 dst_sel:DWORD dst_unused:UNUSED_PAD src0_sel:DWORD src1_sel:WORD_1
	v_mul_f16_sdwa v62, v34, v26 dst_sel:DWORD dst_unused:UNUSED_PAD src0_sel:DWORD src1_sel:WORD_1
	v_mul_f16_sdwa v63, v54, v27 dst_sel:DWORD dst_unused:UNUSED_PAD src0_sel:DWORD src1_sel:WORD_1
	v_mul_f16_sdwa v64, v37, v27 dst_sel:DWORD dst_unused:UNUSED_PAD src0_sel:DWORD src1_sel:WORD_1
	v_mul_f16_sdwa v69, v49, v39 dst_sel:DWORD dst_unused:UNUSED_PAD src0_sel:DWORD src1_sel:WORD_1
	v_mul_f16_sdwa v70, v23, v39 dst_sel:DWORD dst_unused:UNUSED_PAD src0_sel:DWORD src1_sel:WORD_1
	v_mul_f16_sdwa v71, v50, v40 dst_sel:DWORD dst_unused:UNUSED_PAD src0_sel:DWORD src1_sel:WORD_1
	v_mul_f16_sdwa v72, v22, v40 dst_sel:DWORD dst_unused:UNUSED_PAD src0_sel:DWORD src1_sel:WORD_1
	v_mul_f16_sdwa v73, v55, v41 dst_sel:DWORD dst_unused:UNUSED_PAD src0_sel:DWORD src1_sel:WORD_1
	v_mul_f16_sdwa v74, v33, v41 dst_sel:DWORD dst_unused:UNUSED_PAD src0_sel:DWORD src1_sel:WORD_1
	v_mul_f16_sdwa v75, v53, v42 dst_sel:DWORD dst_unused:UNUSED_PAD src0_sel:DWORD src1_sel:WORD_1
	v_mul_f16_sdwa v76, v29, v42 dst_sel:DWORD dst_unused:UNUSED_PAD src0_sel:DWORD src1_sel:WORD_1
	v_mul_f16_sdwa v77, v51, v43 dst_sel:DWORD dst_unused:UNUSED_PAD src0_sel:DWORD src1_sel:WORD_1
	v_mul_f16_sdwa v78, v18, v43 dst_sel:DWORD dst_unused:UNUSED_PAD src0_sel:DWORD src1_sel:WORD_1
	v_mul_f16_sdwa v79, v56, v44 dst_sel:DWORD dst_unused:UNUSED_PAD src0_sel:DWORD src1_sel:WORD_1
	v_mul_f16_sdwa v80, v31, v44 dst_sel:DWORD dst_unused:UNUSED_PAD src0_sel:DWORD src1_sel:WORD_1
	v_fma_f16 v38, v38, v24, v57
	v_fma_f16 v24, v32, v24, -v58
	v_fma_f16 v32, v35, v25, v59
	v_fma_f16 v25, v45, v25, -v60
	;; [unrolled: 2-line block ×12, first 2 shown]
	v_add_f16_e32 v43, v38, v17
	v_add_f16_e32 v44, v24, v20
	v_sub_f16_e32 v17, v38, v17
	v_sub_f16_e32 v20, v24, v20
	v_add_f16_e32 v24, v32, v36
	v_add_f16_e32 v38, v25, v19
	v_sub_f16_e32 v32, v32, v36
	v_sub_f16_e32 v19, v25, v19
	;; [unrolled: 4-line block ×4, first 2 shown]
	v_sub_f16_e32 v43, v43, v25
	v_sub_f16_e32 v44, v44, v36
	v_sub_f16_e32 v24, v25, v24
	v_sub_f16_e32 v38, v36, v38
	v_add_f16_e32 v49, v34, v32
	v_add_f16_e32 v50, v26, v19
	v_sub_f16_e32 v51, v34, v32
	v_sub_f16_e32 v52, v26, v19
	;; [unrolled: 1-line block ×4, first 2 shown]
	v_add_f16_e32 v25, v25, v27
	v_add_f16_e32 v27, v36, v35
	v_sub_f16_e32 v34, v17, v34
	v_sub_f16_e32 v26, v20, v26
	v_add_f16_e32 v17, v49, v17
	v_add_f16_e32 v20, v50, v20
	;; [unrolled: 1-line block ×4, first 2 shown]
	v_mul_f16_e32 v36, 0x3a52, v43
	v_mul_f16_e32 v43, 0x3a52, v44
	;; [unrolled: 1-line block ×8, first 2 shown]
	v_fma_f16 v25, v25, s14, v16
	v_fma_f16 v27, v27, s14, v35
	;; [unrolled: 1-line block ×4, first 2 shown]
	v_fma_f16 v44, v45, s1, -v44
	v_fma_f16 v48, v46, s1, -v48
	;; [unrolled: 1-line block ×4, first 2 shown]
	v_fma_f16 v45, v34, s15, v49
	v_fma_f16 v46, v26, s15, v50
	v_fma_f16 v32, v32, s0, -v49
	v_fma_f16 v19, v19, s0, -v50
	v_fma_f16 v34, v34, s8, -v51
	v_fma_f16 v26, v26, s8, -v52
	v_add_f16_e32 v24, v24, v25
	v_add_f16_e32 v38, v38, v27
	;; [unrolled: 1-line block ×6, first 2 shown]
	v_fma_f16 v36, v17, s6, v45
	v_fma_f16 v43, v20, s6, v46
	;; [unrolled: 1-line block ×6, first 2 shown]
	v_add_f16_e32 v26, v43, v24
	v_sub_f16_e32 v34, v38, v36
	v_add_f16_e32 v45, v20, v25
	v_sub_f16_e32 v46, v27, v17
	v_sub_f16_e32 v20, v25, v20
	v_add_f16_e32 v27, v17, v27
	v_sub_f16_e32 v17, v24, v43
	v_add_f16_e32 v36, v36, v38
	v_add_f16_e32 v24, v21, v31
	;; [unrolled: 1-line block ×3, first 2 shown]
	v_sub_f16_e32 v21, v21, v31
	v_add_f16_e32 v31, v22, v18
	v_add_f16_e32 v38, v37, v41
	v_sub_f16_e32 v23, v23, v42
	v_sub_f16_e32 v18, v22, v18
	;; [unrolled: 1-line block ×3, first 2 shown]
	v_add_f16_e32 v37, v33, v29
	v_add_f16_e32 v41, v39, v40
	v_sub_f16_e32 v29, v29, v33
	v_sub_f16_e32 v33, v40, v39
	v_add_f16_e32 v39, v31, v24
	v_add_f16_e32 v40, v38, v25
	v_sub_f16_e32 v49, v44, v19
	v_add_f16_e32 v50, v32, v48
	v_add_f16_e32 v19, v19, v44
	v_sub_f16_e32 v32, v48, v32
	v_sub_f16_e32 v42, v31, v24
	;; [unrolled: 1-line block ×7, first 2 shown]
	v_add_f16_e32 v44, v29, v18
	v_add_f16_e32 v48, v33, v22
	v_sub_f16_e32 v51, v29, v18
	v_sub_f16_e32 v52, v33, v22
	v_sub_f16_e32 v22, v22, v23
	v_add_f16_e32 v37, v37, v39
	v_add_f16_e32 v39, v41, v40
	v_sub_f16_e32 v29, v21, v29
	v_sub_f16_e32 v33, v23, v33
	;; [unrolled: 1-line block ×3, first 2 shown]
	v_add_f16_e32 v21, v44, v21
	v_add_f16_e32 v23, v48, v23
	;; [unrolled: 1-line block ×4, first 2 shown]
	v_mul_f16_e32 v24, 0x3a52, v24
	v_mul_f16_e32 v25, 0x3a52, v25
	;; [unrolled: 1-line block ×8, first 2 shown]
	v_fma_f16 v37, v37, s14, v13
	v_fma_f16 v39, v39, s14, v40
	;; [unrolled: 1-line block ×4, first 2 shown]
	v_fma_f16 v41, v42, s1, -v41
	v_fma_f16 v44, v43, s1, -v44
	;; [unrolled: 1-line block ×4, first 2 shown]
	v_fma_f16 v43, v33, s15, v48
	v_fma_f16 v18, v18, s0, -v47
	v_fma_f16 v22, v22, s0, -v48
	;; [unrolled: 1-line block ×3, first 2 shown]
	v_fma_f16 v42, v29, s15, v47
	v_add_f16_e32 v38, v38, v39
	v_add_f16_e32 v41, v41, v37
	;; [unrolled: 1-line block ×5, first 2 shown]
	v_fma_f16 v39, v23, s6, v43
	v_fma_f16 v18, v21, s6, v18
	v_fma_f16 v22, v23, s6, v22
	v_fma_f16 v23, v23, s6, v33
	v_fma_f16 v29, v29, s8, -v51
	v_add_f16_e32 v31, v31, v37
	v_fma_f16 v37, v21, s6, v42
	v_add_f16_e32 v42, v23, v24
	v_sub_f16_e32 v47, v41, v22
	v_add_f16_e32 v48, v18, v44
	v_add_f16_e32 v22, v22, v41
	v_sub_f16_e32 v41, v44, v18
	v_sub_f16_e32 v18, v24, v23
	s_movk_i32 s16, 0x134
	v_mov_b32_e32 v23, 1
	v_fma_f16 v21, v21, s6, v29
	v_mad_u32_u24 v8, v8, s16, 0
	v_lshlrev_b32_sdwa v14, v23, v14 dst_sel:DWORD dst_unused:UNUSED_PAD src0_sel:DWORD src1_sel:BYTE_0
	v_add_f16_e32 v29, v39, v31
	v_sub_f16_e32 v33, v38, v37
	v_sub_f16_e32 v43, v25, v21
	v_add_f16_e32 v44, v21, v25
	v_sub_f16_e32 v21, v31, v39
	v_add_f16_e32 v31, v37, v38
	v_add3_u32 v37, v8, v14, v7
	v_mad_u32_u24 v8, v28, s16, 0
	v_lshlrev_b32_sdwa v14, v23, v30 dst_sel:DWORD dst_unused:UNUSED_PAD src0_sel:DWORD src1_sel:BYTE_0
	ds_write_b16 v37, v16
	ds_write_b16 v37, v26 offset:44
	ds_write_b16 v37, v45 offset:88
	ds_write_b16 v37, v49 offset:132
	ds_write_b16 v37, v19 offset:176
	ds_write_b16 v37, v20 offset:220
	ds_write_b16 v37, v17 offset:264
	v_add3_u32 v26, v8, v14, v7
	ds_write_b16 v26, v13
	ds_write_b16 v26, v29 offset:44
	ds_write_b16 v26, v42 offset:88
	;; [unrolled: 1-line block ×6, first 2 shown]
	s_waitcnt lgkmcnt(0)
	s_barrier
	ds_read_u16 v16, v5 offset:1848
	ds_read_u16 v8, v10
	ds_read_u16 v13, v11
	ds_read_u16 v19, v12
	ds_read_u16 v7, v0
	ds_read_u16 v21, v5 offset:462
	ds_read_u16 v20, v5 offset:770
	;; [unrolled: 1-line block ×7, first 2 shown]
	ds_read_u16 v18, v15
	ds_read_u16 v25, v5 offset:2002
	s_waitcnt lgkmcnt(0)
	s_barrier
	ds_write_b16 v37, v35
	ds_write_b16 v37, v34 offset:44
	ds_write_b16 v37, v46 offset:88
	;; [unrolled: 1-line block ×6, first 2 shown]
	ds_write_b16 v26, v40
	ds_write_b16 v26, v33 offset:44
	ds_write_b16 v26, v43 offset:88
	;; [unrolled: 1-line block ×6, first 2 shown]
	s_waitcnt lgkmcnt(0)
	s_barrier
	s_and_saveexec_b64 s[16:17], vcc
	s_cbranch_execz .LBB0_22
; %bb.21:
	v_mul_i32_i24_e32 v26, 6, v9
	v_mov_b32_e32 v27, 0
	v_lshlrev_b64 v[26:27], 2, v[26:27]
	v_mov_b32_e32 v9, s13
	v_add_co_u32_e32 v30, vcc, s12, v26
	v_addc_co_u32_e32 v31, vcc, v9, v27, vcc
	global_load_dwordx4 v[26:29], v[30:31], off offset:608
	global_load_dwordx2 v[32:33], v[30:31], off offset:624
	v_mul_u32_u24_e32 v9, 6, v6
	v_lshlrev_b32_e32 v47, 2, v9
	ds_read_u16 v36, v5 offset:1694
	ds_read_u16 v37, v5 offset:1540
	;; [unrolled: 1-line block ×6, first 2 shown]
	ds_read_u16 v15, v15
	ds_read_u16 v42, v12
	;; [unrolled: 1-line block ×4, first 2 shown]
	ds_read_u16 v45, v5 offset:2002
	ds_read_u16 v46, v5 offset:1848
	;; [unrolled: 1-line block ×3, first 2 shown]
	ds_read_u16 v0, v0
	global_load_dwordx4 v[9:12], v47, s[12:13] offset:608
	global_load_dwordx2 v[30:31], v47, s[12:13] offset:624
	v_mul_lo_u32 v34, s5, v3
	v_mul_lo_u32 v35, s4, v4
	v_mad_u64_u32 v[3:4], s[4:5], s4, v3, 0
	s_mov_b32 s4, 0x3531dec1
	s_movk_i32 s5, 0x9a
	v_add3_u32 v4, v4, v35, v34
	v_lshlrev_b64 v[3:4], 2, v[3:4]
	s_waitcnt vmcnt(3)
	v_lshrrev_b32_e32 v34, 16, v26
	v_lshrrev_b32_e32 v35, 16, v27
	v_lshrrev_b32_e32 v47, 16, v28
	v_lshrrev_b32_e32 v48, 16, v29
	v_mul_f16_e32 v49, v21, v26
	s_waitcnt vmcnt(2)
	v_lshrrev_b32_e32 v50, 16, v32
	v_lshrrev_b32_e32 v51, 16, v33
	v_mul_f16_e32 v52, v25, v33
	v_mul_f16_e32 v53, v23, v29
	;; [unrolled: 1-line block ×5, first 2 shown]
	s_waitcnt lgkmcnt(1)
	v_fma_f16 v49, v5, v34, v49
	v_fma_f16 v52, v45, v51, v52
	v_fma_f16 v53, v38, v48, v53
	v_fma_f16 v54, v40, v47, v54
	v_fma_f16 v55, v41, v35, v55
	v_fma_f16 v56, v36, v50, v56
	v_mul_f16_e32 v25, v25, v51
	v_mul_f16_e32 v21, v21, v34
	;; [unrolled: 1-line block ×6, first 2 shown]
	v_sub_f16_e32 v34, v49, v52
	v_sub_f16_e32 v35, v53, v54
	;; [unrolled: 1-line block ×3, first 2 shown]
	v_fma_f16 v25, v45, v33, -v25
	v_fma_f16 v5, v5, v26, -v21
	;; [unrolled: 1-line block ×6, first 2 shown]
	v_sub_f16_e32 v28, v34, v35
	v_sub_f16_e32 v29, v35, v47
	v_add_f16_e32 v32, v35, v47
	v_add_f16_e32 v33, v5, v25
	;; [unrolled: 1-line block ×4, first 2 shown]
	v_sub_f16_e32 v5, v5, v25
	v_sub_f16_e32 v21, v23, v21
	;; [unrolled: 1-line block ×3, first 2 shown]
	v_add_f16_e32 v24, v49, v52
	v_add_f16_e32 v27, v55, v56
	;; [unrolled: 1-line block ×3, first 2 shown]
	v_sub_f16_e32 v23, v5, v21
	v_sub_f16_e32 v22, v21, v20
	v_add_f16_e32 v21, v21, v20
	v_add_f16_e32 v26, v53, v54
	v_sub_f16_e32 v41, v33, v35
	v_sub_f16_e32 v45, v35, v36
	v_add_f16_e32 v35, v35, v48
	v_add_f16_e32 v52, v24, v27
	;; [unrolled: 1-line block ×3, first 2 shown]
	v_sub_f16_e32 v5, v20, v5
	v_sub_f16_e32 v38, v24, v26
	;; [unrolled: 1-line block ×3, first 2 shown]
	v_mul_f16_e32 v29, 0x3846, v29
	v_add_f16_e32 v32, v34, v32
	v_mul_f16_e32 v51, 0x3a52, v41
	v_mul_f16_e32 v45, 0x2b26, v45
	v_add_f16_e32 v42, v42, v35
	v_add_f16_e32 v26, v26, v52
	v_mul_f16_e32 v22, 0x3846, v22
	v_sub_f16_e32 v34, v47, v34
	v_sub_f16_e32 v33, v36, v33
	v_mul_f16_e32 v20, 0xbb00, v5
	v_mul_f16_e32 v40, 0x2b26, v40
	v_fma_f16 v50, v28, s15, v29
	v_fma_f16 v35, v35, s14, v42
	v_add_f16_e32 v19, v19, v26
	v_fma_f16 v25, v23, s15, v22
	v_mul_f16_e32 v47, 0xbb00, v34
	v_fma_f16 v36, v33, s7, -v51
	v_sub_f16_e32 v24, v27, v24
	v_fma_f16 v20, v23, s8, -v20
	v_fma_f16 v33, v33, s1, -v45
	;; [unrolled: 1-line block ×4, first 2 shown]
	v_mul_f16_e32 v49, 0x3a52, v38
	v_fma_f16 v26, v26, s14, v19
	v_fma_f16 v25, v21, s6, v25
	v_fma_f16 v28, v28, s8, -v47
	v_fma_f16 v20, v21, s6, v20
	v_add_f16_e32 v33, v33, v35
	v_fma_f16 v29, v32, s6, v29
	v_fma_f16 v5, v21, s6, v5
	v_fma_f16 v21, v24, s1, -v40
	v_fma_f16 v48, v32, s6, v50
	v_fma_f16 v41, v41, s9, v45
	;; [unrolled: 1-line block ×4, first 2 shown]
	v_add_f16_e32 v36, v36, v35
	v_fma_f16 v27, v24, s7, -v49
	v_sub_f16_e32 v32, v33, v29
	v_add_f16_e32 v21, v21, v26
	v_add_f16_e32 v24, v29, v33
	s_waitcnt vmcnt(1)
	v_lshrrev_b32_e32 v29, 16, v11
	v_add_f16_e32 v41, v41, v35
	v_add_f16_e32 v38, v38, v26
	;; [unrolled: 1-line block ×5, first 2 shown]
	v_sub_f16_e32 v21, v21, v5
	v_sub_f16_e32 v26, v36, v28
	v_lshrrev_b32_e32 v5, 16, v9
	v_lshrrev_b32_e32 v28, 16, v10
	;; [unrolled: 1-line block ×3, first 2 shown]
	v_mul_f16_e32 v34, v18, v9
	s_waitcnt vmcnt(0)
	v_lshrrev_b32_e32 v35, 16, v30
	v_lshrrev_b32_e32 v36, 16, v31
	v_mul_f16_e32 v45, v13, v11
	v_mul_f16_e32 v13, v13, v29
	v_sub_f16_e32 v52, v38, v25
	v_add_f16_e32 v25, v25, v38
	v_fma_f16 v34, v15, v5, v34
	v_mul_f16_e32 v38, v16, v31
	v_mul_f16_e32 v51, v8, v10
	;; [unrolled: 1-line block ×5, first 2 shown]
	v_fma_f16 v11, v43, v11, -v13
	v_mul_f16_e32 v13, v17, v33
	v_mul_f16_e32 v14, v14, v35
	;; [unrolled: 1-line block ×3, first 2 shown]
	v_add_f16_e32 v50, v48, v41
	v_sub_f16_e32 v23, v27, v20
	v_add_f16_e32 v20, v20, v27
	v_sub_f16_e32 v27, v41, v48
	v_mul_f16_e32 v41, v17, v12
	v_fma_f16 v16, v46, v31, -v16
	v_fma_f16 v5, v15, v9, -v5
	;; [unrolled: 1-line block ×5, first 2 shown]
	v_add_f16_e32 v9, v5, v16
	v_add_f16_e32 v13, v12, v11
	;; [unrolled: 1-line block ×3, first 2 shown]
	v_sub_f16_e32 v5, v5, v16
	v_sub_f16_e32 v11, v12, v11
	;; [unrolled: 1-line block ×5, first 2 shown]
	v_add_f16_e32 v11, v11, v8
	v_fma_f16 v41, v39, v33, v41
	v_fma_f16 v45, v43, v29, v45
	v_fma_f16 v51, v44, v28, v51
	v_fma_f16 v53, v37, v35, v53
	v_add_f16_e32 v28, v9, v10
	v_add_f16_e32 v11, v5, v11
	v_sub_f16_e32 v5, v8, v5
	v_fma_f16 v38, v46, v36, v38
	v_sub_f16_e32 v48, v41, v45
	v_sub_f16_e32 v54, v51, v53
	;; [unrolled: 1-line block ×4, first 2 shown]
	v_add_f16_e32 v13, v13, v28
	v_mul_f16_e32 v8, 0xbb00, v5
	v_sub_f16_e32 v40, v34, v38
	v_sub_f16_e32 v55, v48, v54
	v_mul_f16_e32 v17, 0x3a52, v15
	v_mul_f16_e32 v18, 0x2b26, v18
	s_waitcnt lgkmcnt(0)
	v_add_f16_e32 v28, v0, v13
	v_mul_f16_e32 v14, 0x3846, v14
	v_sub_f16_e32 v9, v10, v9
	v_fma_f16 v8, v12, s8, -v8
	v_sub_f16_e32 v49, v40, v48
	v_mul_f16_e32 v55, 0x3846, v55
	v_add_f16_e32 v48, v48, v54
	v_fma_f16 v15, v15, s9, v18
	v_fma_f16 v0, v13, s14, v28
	;; [unrolled: 1-line block ×3, first 2 shown]
	v_sub_f16_e32 v37, v54, v40
	v_fma_f16 v10, v9, s7, -v17
	v_fma_f16 v12, v11, s6, v8
	v_fma_f16 v8, v9, s1, -v18
	v_add_f16_e32 v48, v40, v48
	v_add_f16_e32 v13, v15, v0
	;; [unrolled: 1-line block ×4, first 2 shown]
	v_fma_f16 v8, v37, s0, -v55
	v_fma_f16 v9, v48, s6, v8
	v_mul_hi_u32 v8, v6, s4
	v_add_f16_e32 v29, v34, v38
	v_add_f16_e32 v34, v51, v53
	;; [unrolled: 1-line block ×3, first 2 shown]
	v_lshrrev_b32_e32 v8, 5, v8
	v_mul_lo_u32 v8, v8, s5
	v_add_f16_e32 v36, v29, v34
	v_sub_f16_e32 v31, v29, v30
	v_sub_f16_e32 v35, v30, v34
	v_add_f16_e32 v30, v30, v36
	v_mul_f16_e32 v33, 0x3a52, v31
	v_mul_f16_e32 v35, 0x2b26, v35
	v_add_f16_e32 v36, v7, v30
	v_sub_f16_e32 v29, v34, v29
	v_fma_f16 v5, v5, s0, -v14
	v_fma_f16 v31, v31, s9, v35
	v_fma_f16 v7, v30, s14, v36
	;; [unrolled: 1-line block ×3, first 2 shown]
	v_fma_f16 v33, v29, s7, -v33
	v_fma_f16 v5, v11, s6, v5
	v_fma_f16 v11, v29, s1, -v35
	v_sub_u32_e32 v29, v6, v8
	v_add_f16_e32 v30, v31, v7
	v_add_f16_e32 v33, v33, v7
	;; [unrolled: 1-line block ×3, first 2 shown]
	v_mad_u64_u32 v[7:8], s[0:1], s2, v29, 0
	v_fma_f16 v56, v49, s15, v55
	v_sub_f16_e32 v18, v0, v9
	v_add_f16_e32 v35, v9, v0
	v_mov_b32_e32 v0, v8
	v_fma_f16 v56, v48, s6, v56
	v_mad_u64_u32 v[8:9], s[0:1], s3, v29, v[0:1]
	v_add_f16_e32 v15, v56, v13
	v_sub_f16_e32 v31, v30, v16
	v_sub_f16_e32 v34, v33, v12
	v_add_f16_e32 v14, v5, v11
	v_sub_f16_e32 v11, v11, v5
	v_add_f16_e32 v9, v12, v33
	;; [unrolled: 2-line block ×3, first 2 shown]
	v_mov_b32_e32 v0, s11
	v_add_co_u32_e32 v13, vcc, s10, v3
	v_add_u32_e32 v16, 0x9a, v29
	v_addc_co_u32_e32 v4, vcc, v0, v4, vcc
	v_lshlrev_b64 v[0:1], 2, v[1:2]
	v_mad_u64_u32 v[2:3], s[0:1], s2, v16, 0
	v_add_co_u32_e32 v13, vcc, v13, v0
	v_addc_co_u32_e32 v30, vcc, v4, v1, vcc
	v_lshlrev_b64 v[0:1], 2, v[7:8]
	v_mad_u64_u32 v[3:4], s[0:1], s3, v16, v[3:4]
	v_add_co_u32_e32 v0, vcc, v13, v0
	v_addc_co_u32_e32 v1, vcc, v30, v1, vcc
	v_pack_b32_f16 v4, v36, v28
	global_store_dword v[0:1], v4, off
	v_add_u32_e32 v4, 0x134, v29
	v_lshlrev_b64 v[0:1], 2, v[2:3]
	v_mad_u64_u32 v[2:3], s[0:1], s2, v4, 0
	v_add_u32_e32 v8, 0x1ce, v29
	v_pack_b32_f16 v7, v12, v5
	v_mad_u64_u32 v[3:4], s[0:1], s3, v4, v[3:4]
	v_mad_u64_u32 v[4:5], s[0:1], s2, v8, 0
	v_add_co_u32_e32 v0, vcc, v13, v0
	v_addc_co_u32_e32 v1, vcc, v30, v1, vcc
	global_store_dword v[0:1], v7, off
	v_lshlrev_b64 v[0:1], 2, v[2:3]
	v_mov_b32_e32 v2, v5
	v_mul_f16_e32 v38, 0xbb00, v37
	v_mad_u64_u32 v[2:3], s[0:1], s3, v8, v[2:3]
	v_fma_f16 v38, v49, s8, -v38
	v_fma_f16 v38, v48, s6, v38
	v_add_f16_e32 v17, v38, v10
	v_sub_f16_e32 v10, v10, v38
	v_add_co_u32_e32 v0, vcc, v13, v0
	v_addc_co_u32_e32 v1, vcc, v30, v1, vcc
	v_pack_b32_f16 v3, v9, v10
	v_mov_b32_e32 v5, v2
	global_store_dword v[0:1], v3, off
	v_lshlrev_b64 v[0:1], 2, v[4:5]
	v_add_u32_e32 v4, 0x268, v29
	v_mad_u64_u32 v[2:3], s[0:1], s2, v4, 0
	v_add_u32_e32 v8, 0x302, v29
	v_add_co_u32_e32 v0, vcc, v13, v0
	v_mad_u64_u32 v[3:4], s[0:1], s3, v4, v[3:4]
	v_mad_u64_u32 v[4:5], s[0:1], s2, v8, 0
	v_addc_co_u32_e32 v1, vcc, v30, v1, vcc
	v_pack_b32_f16 v7, v11, v35
	global_store_dword v[0:1], v7, off
	v_lshlrev_b64 v[0:1], 2, v[2:3]
	v_mov_b32_e32 v2, v5
	v_mad_u64_u32 v[2:3], s[0:1], s3, v8, v[2:3]
	v_add_co_u32_e32 v0, vcc, v13, v0
	v_addc_co_u32_e32 v1, vcc, v30, v1, vcc
	v_pack_b32_f16 v3, v14, v18
	v_mov_b32_e32 v5, v2
	global_store_dword v[0:1], v3, off
	v_lshlrev_b64 v[0:1], 2, v[4:5]
	v_add_u32_e32 v4, 0x4d, v6
	v_mul_hi_u32 v5, v4, s4
	v_add_u32_e32 v6, 0x39c, v29
	v_mad_u64_u32 v[2:3], s[0:1], s2, v6, 0
	v_lshrrev_b32_e32 v5, 5, v5
	v_mul_lo_u32 v7, v5, s5
	s_movk_i32 s0, 0x436
	v_add_co_u32_e32 v0, vcc, v13, v0
	v_sub_u32_e32 v4, v4, v7
	v_mad_u64_u32 v[4:5], s[0:1], v5, s0, v[4:5]
	v_addc_co_u32_e32 v1, vcc, v30, v1, vcc
	v_mad_u64_u32 v[5:6], s[0:1], s3, v6, v[3:4]
	v_mad_u64_u32 v[6:7], s[0:1], s2, v4, 0
	v_pack_b32_f16 v8, v34, v17
	v_mov_b32_e32 v3, v5
	global_store_dword v[0:1], v8, off
	v_lshlrev_b64 v[0:1], 2, v[2:3]
	v_mov_b32_e32 v2, v7
	v_mad_u64_u32 v[2:3], s[0:1], s3, v4, v[2:3]
	v_add_co_u32_e32 v0, vcc, v13, v0
	v_addc_co_u32_e32 v1, vcc, v30, v1, vcc
	v_pack_b32_f16 v3, v31, v15
	v_add_u32_e32 v5, 0x9a, v4
	global_store_dword v[0:1], v3, off
	v_mov_b32_e32 v7, v2
	v_mad_u64_u32 v[2:3], s[0:1], s2, v5, 0
	v_lshlrev_b64 v[0:1], 2, v[6:7]
	v_add_u32_e32 v9, 0x134, v4
	v_mad_u64_u32 v[5:6], s[0:1], s3, v5, v[3:4]
	v_mad_u64_u32 v[6:7], s[0:1], s2, v9, 0
	v_add_co_u32_e32 v0, vcc, v13, v0
	v_addc_co_u32_e32 v1, vcc, v30, v1, vcc
	v_pack_b32_f16 v8, v19, v42
	v_mov_b32_e32 v3, v5
	global_store_dword v[0:1], v8, off
	v_lshlrev_b64 v[0:1], 2, v[2:3]
	v_mov_b32_e32 v2, v7
	v_mad_u64_u32 v[2:3], s[0:1], s3, v9, v[2:3]
	v_add_co_u32_e32 v0, vcc, v13, v0
	v_addc_co_u32_e32 v1, vcc, v30, v1, vcc
	v_pack_b32_f16 v3, v25, v27
	v_add_u32_e32 v5, 0x1ce, v4
	global_store_dword v[0:1], v3, off
	v_mov_b32_e32 v7, v2
	v_mad_u64_u32 v[2:3], s[0:1], s2, v5, 0
	v_lshlrev_b64 v[0:1], 2, v[6:7]
	v_add_u32_e32 v9, 0x268, v4
	v_mad_u64_u32 v[5:6], s[0:1], s3, v5, v[3:4]
	v_mad_u64_u32 v[6:7], s[0:1], s2, v9, 0
	v_add_co_u32_e32 v0, vcc, v13, v0
	v_addc_co_u32_e32 v1, vcc, v30, v1, vcc
	v_pack_b32_f16 v8, v20, v26
	v_mov_b32_e32 v3, v5
	global_store_dword v[0:1], v8, off
	v_lshlrev_b64 v[0:1], 2, v[2:3]
	v_mov_b32_e32 v2, v7
	v_mad_u64_u32 v[2:3], s[0:1], s3, v9, v[2:3]
	v_add_co_u32_e32 v0, vcc, v13, v0
	v_addc_co_u32_e32 v1, vcc, v30, v1, vcc
	v_pack_b32_f16 v3, v21, v24
	v_add_u32_e32 v5, 0x302, v4
	global_store_dword v[0:1], v3, off
	v_mov_b32_e32 v7, v2
	v_mad_u64_u32 v[2:3], s[0:1], s2, v5, 0
	v_lshlrev_b64 v[0:1], 2, v[6:7]
	v_pack_b32_f16 v8, v22, v32
	v_mad_u64_u32 v[5:6], s[0:1], s3, v5, v[3:4]
	v_add_u32_e32 v4, 0x39c, v4
	v_mad_u64_u32 v[6:7], s[0:1], s2, v4, 0
	v_add_co_u32_e32 v0, vcc, v13, v0
	v_addc_co_u32_e32 v1, vcc, v30, v1, vcc
	v_mov_b32_e32 v3, v5
	global_store_dword v[0:1], v8, off
	v_lshlrev_b64 v[0:1], 2, v[2:3]
	v_mov_b32_e32 v2, v7
	v_mad_u64_u32 v[2:3], s[0:1], s3, v4, v[2:3]
	v_add_co_u32_e32 v0, vcc, v13, v0
	v_addc_co_u32_e32 v1, vcc, v30, v1, vcc
	v_pack_b32_f16 v3, v23, v47
	v_mov_b32_e32 v7, v2
	global_store_dword v[0:1], v3, off
	v_lshlrev_b64 v[0:1], 2, v[6:7]
	v_pack_b32_f16 v2, v52, v50
	v_add_co_u32_e32 v0, vcc, v13, v0
	v_addc_co_u32_e32 v1, vcc, v30, v1, vcc
	global_store_dword v[0:1], v2, off
.LBB0_22:
	s_endpgm
	.section	.rodata,"a",@progbits
	.p2align	6, 0x0
	.amdhsa_kernel fft_rtc_back_len1078_factors_2_11_7_7_wgs_231_tpt_77_halfLds_half_op_CI_CI_sbrr_dirReg
		.amdhsa_group_segment_fixed_size 0
		.amdhsa_private_segment_fixed_size 0
		.amdhsa_kernarg_size 104
		.amdhsa_user_sgpr_count 6
		.amdhsa_user_sgpr_private_segment_buffer 1
		.amdhsa_user_sgpr_dispatch_ptr 0
		.amdhsa_user_sgpr_queue_ptr 0
		.amdhsa_user_sgpr_kernarg_segment_ptr 1
		.amdhsa_user_sgpr_dispatch_id 0
		.amdhsa_user_sgpr_flat_scratch_init 0
		.amdhsa_user_sgpr_private_segment_size 0
		.amdhsa_uses_dynamic_stack 0
		.amdhsa_system_sgpr_private_segment_wavefront_offset 0
		.amdhsa_system_sgpr_workgroup_id_x 1
		.amdhsa_system_sgpr_workgroup_id_y 0
		.amdhsa_system_sgpr_workgroup_id_z 0
		.amdhsa_system_sgpr_workgroup_info 0
		.amdhsa_system_vgpr_workitem_id 0
		.amdhsa_next_free_vgpr 83
		.amdhsa_next_free_sgpr 32
		.amdhsa_reserve_vcc 1
		.amdhsa_reserve_flat_scratch 0
		.amdhsa_float_round_mode_32 0
		.amdhsa_float_round_mode_16_64 0
		.amdhsa_float_denorm_mode_32 3
		.amdhsa_float_denorm_mode_16_64 3
		.amdhsa_dx10_clamp 1
		.amdhsa_ieee_mode 1
		.amdhsa_fp16_overflow 0
		.amdhsa_exception_fp_ieee_invalid_op 0
		.amdhsa_exception_fp_denorm_src 0
		.amdhsa_exception_fp_ieee_div_zero 0
		.amdhsa_exception_fp_ieee_overflow 0
		.amdhsa_exception_fp_ieee_underflow 0
		.amdhsa_exception_fp_ieee_inexact 0
		.amdhsa_exception_int_div_zero 0
	.end_amdhsa_kernel
	.text
.Lfunc_end0:
	.size	fft_rtc_back_len1078_factors_2_11_7_7_wgs_231_tpt_77_halfLds_half_op_CI_CI_sbrr_dirReg, .Lfunc_end0-fft_rtc_back_len1078_factors_2_11_7_7_wgs_231_tpt_77_halfLds_half_op_CI_CI_sbrr_dirReg
                                        ; -- End function
	.section	.AMDGPU.csdata,"",@progbits
; Kernel info:
; codeLenInByte = 12704
; NumSgprs: 36
; NumVgprs: 83
; ScratchSize: 0
; MemoryBound: 0
; FloatMode: 240
; IeeeMode: 1
; LDSByteSize: 0 bytes/workgroup (compile time only)
; SGPRBlocks: 4
; VGPRBlocks: 20
; NumSGPRsForWavesPerEU: 36
; NumVGPRsForWavesPerEU: 83
; Occupancy: 3
; WaveLimiterHint : 1
; COMPUTE_PGM_RSRC2:SCRATCH_EN: 0
; COMPUTE_PGM_RSRC2:USER_SGPR: 6
; COMPUTE_PGM_RSRC2:TRAP_HANDLER: 0
; COMPUTE_PGM_RSRC2:TGID_X_EN: 1
; COMPUTE_PGM_RSRC2:TGID_Y_EN: 0
; COMPUTE_PGM_RSRC2:TGID_Z_EN: 0
; COMPUTE_PGM_RSRC2:TIDIG_COMP_CNT: 0
	.type	__hip_cuid_1db50b85c141514c,@object ; @__hip_cuid_1db50b85c141514c
	.section	.bss,"aw",@nobits
	.globl	__hip_cuid_1db50b85c141514c
__hip_cuid_1db50b85c141514c:
	.byte	0                               ; 0x0
	.size	__hip_cuid_1db50b85c141514c, 1

	.ident	"AMD clang version 19.0.0git (https://github.com/RadeonOpenCompute/llvm-project roc-6.4.0 25133 c7fe45cf4b819c5991fe208aaa96edf142730f1d)"
	.section	".note.GNU-stack","",@progbits
	.addrsig
	.addrsig_sym __hip_cuid_1db50b85c141514c
	.amdgpu_metadata
---
amdhsa.kernels:
  - .args:
      - .actual_access:  read_only
        .address_space:  global
        .offset:         0
        .size:           8
        .value_kind:     global_buffer
      - .offset:         8
        .size:           8
        .value_kind:     by_value
      - .actual_access:  read_only
        .address_space:  global
        .offset:         16
        .size:           8
        .value_kind:     global_buffer
      - .actual_access:  read_only
        .address_space:  global
        .offset:         24
        .size:           8
        .value_kind:     global_buffer
      - .actual_access:  read_only
        .address_space:  global
        .offset:         32
        .size:           8
        .value_kind:     global_buffer
      - .offset:         40
        .size:           8
        .value_kind:     by_value
      - .actual_access:  read_only
        .address_space:  global
        .offset:         48
        .size:           8
        .value_kind:     global_buffer
      - .actual_access:  read_only
        .address_space:  global
        .offset:         56
        .size:           8
        .value_kind:     global_buffer
      - .offset:         64
        .size:           4
        .value_kind:     by_value
      - .actual_access:  read_only
        .address_space:  global
        .offset:         72
        .size:           8
        .value_kind:     global_buffer
      - .actual_access:  read_only
        .address_space:  global
        .offset:         80
        .size:           8
        .value_kind:     global_buffer
      - .actual_access:  read_only
        .address_space:  global
        .offset:         88
        .size:           8
        .value_kind:     global_buffer
      - .actual_access:  write_only
        .address_space:  global
        .offset:         96
        .size:           8
        .value_kind:     global_buffer
    .group_segment_fixed_size: 0
    .kernarg_segment_align: 8
    .kernarg_segment_size: 104
    .language:       OpenCL C
    .language_version:
      - 2
      - 0
    .max_flat_workgroup_size: 231
    .name:           fft_rtc_back_len1078_factors_2_11_7_7_wgs_231_tpt_77_halfLds_half_op_CI_CI_sbrr_dirReg
    .private_segment_fixed_size: 0
    .sgpr_count:     36
    .sgpr_spill_count: 0
    .symbol:         fft_rtc_back_len1078_factors_2_11_7_7_wgs_231_tpt_77_halfLds_half_op_CI_CI_sbrr_dirReg.kd
    .uniform_work_group_size: 1
    .uses_dynamic_stack: false
    .vgpr_count:     83
    .vgpr_spill_count: 0
    .wavefront_size: 64
amdhsa.target:   amdgcn-amd-amdhsa--gfx906
amdhsa.version:
  - 1
  - 2
...

	.end_amdgpu_metadata
